;; amdgpu-corpus repo=ROCm/rocFFT kind=compiled arch=gfx906 opt=O3
	.text
	.amdgcn_target "amdgcn-amd-amdhsa--gfx906"
	.amdhsa_code_object_version 6
	.protected	fft_rtc_fwd_len150_factors_10_5_3_wgs_60_tpt_5_halfLds_dp_op_CI_CI_unitstride_sbrr_dirReg ; -- Begin function fft_rtc_fwd_len150_factors_10_5_3_wgs_60_tpt_5_halfLds_dp_op_CI_CI_unitstride_sbrr_dirReg
	.globl	fft_rtc_fwd_len150_factors_10_5_3_wgs_60_tpt_5_halfLds_dp_op_CI_CI_unitstride_sbrr_dirReg
	.p2align	8
	.type	fft_rtc_fwd_len150_factors_10_5_3_wgs_60_tpt_5_halfLds_dp_op_CI_CI_unitstride_sbrr_dirReg,@function
fft_rtc_fwd_len150_factors_10_5_3_wgs_60_tpt_5_halfLds_dp_op_CI_CI_unitstride_sbrr_dirReg: ; @fft_rtc_fwd_len150_factors_10_5_3_wgs_60_tpt_5_halfLds_dp_op_CI_CI_unitstride_sbrr_dirReg
; %bb.0:
	v_mul_u32_u24_e32 v1, 0x3334, v0
	s_load_dwordx4 s[8:11], s[4:5], 0x58
	s_load_dwordx4 s[12:15], s[4:5], 0x0
	;; [unrolled: 1-line block ×3, first 2 shown]
	v_lshrrev_b32_e32 v1, 16, v1
	v_mad_u64_u32 v[124:125], s[0:1], s6, 12, v[1:2]
	v_mov_b32_e32 v4, 0
	v_mov_b32_e32 v1, 0
	s_waitcnt lgkmcnt(0)
	v_cmp_lt_u64_e64 s[0:1], s[14:15], 2
	v_mov_b32_e32 v5, 0
	v_mov_b32_e32 v125, v1
	;; [unrolled: 1-line block ×4, first 2 shown]
	s_and_b64 vcc, exec, s[0:1]
	v_mov_b32_e32 v120, v4
	v_mov_b32_e32 v123, v125
	s_cbranch_vccnz .LBB0_8
; %bb.1:
	s_load_dwordx2 s[0:1], s[4:5], 0x10
	s_add_u32 s2, s18, 8
	s_addc_u32 s3, s19, 0
	s_add_u32 s6, s16, 8
	v_mov_b32_e32 v4, 0
	s_addc_u32 s7, s17, 0
	v_mov_b32_e32 v5, 0
	s_waitcnt lgkmcnt(0)
	s_add_u32 s20, s0, 8
	v_mov_b32_e32 v121, v5
	v_mov_b32_e32 v6, v124
	s_addc_u32 s21, s1, 0
	s_mov_b64 s[22:23], 1
	v_mov_b32_e32 v120, v4
	v_mov_b32_e32 v7, v125
.LBB0_2:                                ; =>This Inner Loop Header: Depth=1
	s_load_dwordx2 s[24:25], s[20:21], 0x0
                                        ; implicit-def: $vgpr122_vgpr123
	s_waitcnt lgkmcnt(0)
	v_or_b32_e32 v2, s25, v7
	v_cmp_ne_u64_e32 vcc, 0, v[1:2]
	s_and_saveexec_b64 s[0:1], vcc
	s_xor_b64 s[26:27], exec, s[0:1]
	s_cbranch_execz .LBB0_4
; %bb.3:                                ;   in Loop: Header=BB0_2 Depth=1
	v_cvt_f32_u32_e32 v2, s24
	v_cvt_f32_u32_e32 v3, s25
	s_sub_u32 s0, 0, s24
	s_subb_u32 s1, 0, s25
	v_mac_f32_e32 v2, 0x4f800000, v3
	v_rcp_f32_e32 v2, v2
	v_mul_f32_e32 v2, 0x5f7ffffc, v2
	v_mul_f32_e32 v3, 0x2f800000, v2
	v_trunc_f32_e32 v3, v3
	v_mac_f32_e32 v2, 0xcf800000, v3
	v_cvt_u32_f32_e32 v3, v3
	v_cvt_u32_f32_e32 v2, v2
	v_mul_lo_u32 v8, s0, v3
	v_mul_hi_u32 v9, s0, v2
	v_mul_lo_u32 v11, s1, v2
	v_mul_lo_u32 v10, s0, v2
	v_add_u32_e32 v8, v9, v8
	v_add_u32_e32 v8, v8, v11
	v_mul_hi_u32 v9, v2, v10
	v_mul_lo_u32 v11, v2, v8
	v_mul_hi_u32 v13, v2, v8
	v_mul_hi_u32 v12, v3, v10
	v_mul_lo_u32 v10, v3, v10
	v_mul_hi_u32 v14, v3, v8
	v_add_co_u32_e32 v9, vcc, v9, v11
	v_addc_co_u32_e32 v11, vcc, 0, v13, vcc
	v_mul_lo_u32 v8, v3, v8
	v_add_co_u32_e32 v9, vcc, v9, v10
	v_addc_co_u32_e32 v9, vcc, v11, v12, vcc
	v_addc_co_u32_e32 v10, vcc, 0, v14, vcc
	v_add_co_u32_e32 v8, vcc, v9, v8
	v_addc_co_u32_e32 v9, vcc, 0, v10, vcc
	v_add_co_u32_e32 v2, vcc, v2, v8
	v_addc_co_u32_e32 v3, vcc, v3, v9, vcc
	v_mul_lo_u32 v8, s0, v3
	v_mul_hi_u32 v9, s0, v2
	v_mul_lo_u32 v10, s1, v2
	v_mul_lo_u32 v11, s0, v2
	v_add_u32_e32 v8, v9, v8
	v_add_u32_e32 v8, v8, v10
	v_mul_lo_u32 v12, v2, v8
	v_mul_hi_u32 v13, v2, v11
	v_mul_hi_u32 v14, v2, v8
	;; [unrolled: 1-line block ×3, first 2 shown]
	v_mul_lo_u32 v11, v3, v11
	v_mul_hi_u32 v9, v3, v8
	v_add_co_u32_e32 v12, vcc, v13, v12
	v_addc_co_u32_e32 v13, vcc, 0, v14, vcc
	v_mul_lo_u32 v8, v3, v8
	v_add_co_u32_e32 v11, vcc, v12, v11
	v_addc_co_u32_e32 v10, vcc, v13, v10, vcc
	v_addc_co_u32_e32 v9, vcc, 0, v9, vcc
	v_add_co_u32_e32 v8, vcc, v10, v8
	v_addc_co_u32_e32 v9, vcc, 0, v9, vcc
	v_add_co_u32_e32 v8, vcc, v2, v8
	v_addc_co_u32_e32 v9, vcc, v3, v9, vcc
	v_mad_u64_u32 v[2:3], s[0:1], v6, v9, 0
	v_mul_hi_u32 v10, v6, v8
	v_add_co_u32_e32 v10, vcc, v10, v2
	v_addc_co_u32_e32 v11, vcc, 0, v3, vcc
	v_mad_u64_u32 v[2:3], s[0:1], v7, v8, 0
	v_mad_u64_u32 v[8:9], s[0:1], v7, v9, 0
	v_add_co_u32_e32 v2, vcc, v10, v2
	v_addc_co_u32_e32 v2, vcc, v11, v3, vcc
	v_addc_co_u32_e32 v3, vcc, 0, v9, vcc
	v_add_co_u32_e32 v8, vcc, v2, v8
	v_addc_co_u32_e32 v9, vcc, 0, v3, vcc
	v_mul_lo_u32 v10, s25, v8
	v_mul_lo_u32 v11, s24, v9
	v_mad_u64_u32 v[2:3], s[0:1], s24, v8, 0
	v_add3_u32 v3, v3, v11, v10
	v_sub_u32_e32 v10, v7, v3
	v_mov_b32_e32 v11, s25
	v_sub_co_u32_e32 v2, vcc, v6, v2
	v_subb_co_u32_e64 v10, s[0:1], v10, v11, vcc
	v_subrev_co_u32_e64 v11, s[0:1], s24, v2
	v_subbrev_co_u32_e64 v10, s[0:1], 0, v10, s[0:1]
	v_cmp_le_u32_e64 s[0:1], s25, v10
	v_cndmask_b32_e64 v12, 0, -1, s[0:1]
	v_cmp_le_u32_e64 s[0:1], s24, v11
	v_cndmask_b32_e64 v11, 0, -1, s[0:1]
	v_cmp_eq_u32_e64 s[0:1], s25, v10
	v_cndmask_b32_e64 v10, v12, v11, s[0:1]
	v_add_co_u32_e64 v11, s[0:1], 2, v8
	v_addc_co_u32_e64 v12, s[0:1], 0, v9, s[0:1]
	v_add_co_u32_e64 v13, s[0:1], 1, v8
	v_addc_co_u32_e64 v14, s[0:1], 0, v9, s[0:1]
	v_subb_co_u32_e32 v3, vcc, v7, v3, vcc
	v_cmp_ne_u32_e64 s[0:1], 0, v10
	v_cmp_le_u32_e32 vcc, s25, v3
	v_cndmask_b32_e64 v10, v14, v12, s[0:1]
	v_cndmask_b32_e64 v12, 0, -1, vcc
	v_cmp_le_u32_e32 vcc, s24, v2
	v_cndmask_b32_e64 v2, 0, -1, vcc
	v_cmp_eq_u32_e32 vcc, s25, v3
	v_cndmask_b32_e32 v2, v12, v2, vcc
	v_cmp_ne_u32_e32 vcc, 0, v2
	v_cndmask_b32_e64 v2, v13, v11, s[0:1]
	v_cndmask_b32_e32 v123, v9, v10, vcc
	v_cndmask_b32_e32 v122, v8, v2, vcc
.LBB0_4:                                ;   in Loop: Header=BB0_2 Depth=1
	s_andn2_saveexec_b64 s[0:1], s[26:27]
	s_cbranch_execz .LBB0_6
; %bb.5:                                ;   in Loop: Header=BB0_2 Depth=1
	v_cvt_f32_u32_e32 v2, s24
	s_sub_i32 s26, 0, s24
	v_mov_b32_e32 v123, v1
	v_rcp_iflag_f32_e32 v2, v2
	v_mul_f32_e32 v2, 0x4f7ffffe, v2
	v_cvt_u32_f32_e32 v2, v2
	v_mul_lo_u32 v3, s26, v2
	v_mul_hi_u32 v3, v2, v3
	v_add_u32_e32 v2, v2, v3
	v_mul_hi_u32 v2, v6, v2
	v_mul_lo_u32 v3, v2, s24
	v_add_u32_e32 v8, 1, v2
	v_sub_u32_e32 v3, v6, v3
	v_subrev_u32_e32 v9, s24, v3
	v_cmp_le_u32_e32 vcc, s24, v3
	v_cndmask_b32_e32 v3, v3, v9, vcc
	v_cndmask_b32_e32 v2, v2, v8, vcc
	v_add_u32_e32 v8, 1, v2
	v_cmp_le_u32_e32 vcc, s24, v3
	v_cndmask_b32_e32 v122, v2, v8, vcc
.LBB0_6:                                ;   in Loop: Header=BB0_2 Depth=1
	s_or_b64 exec, exec, s[0:1]
	v_mul_lo_u32 v8, v123, s24
	v_mul_lo_u32 v9, v122, s25
	v_mad_u64_u32 v[2:3], s[0:1], v122, s24, 0
	s_load_dwordx2 s[0:1], s[6:7], 0x0
	s_load_dwordx2 s[24:25], s[2:3], 0x0
	v_add3_u32 v3, v3, v9, v8
	v_sub_co_u32_e32 v2, vcc, v6, v2
	v_subb_co_u32_e32 v3, vcc, v7, v3, vcc
	s_waitcnt lgkmcnt(0)
	v_mul_lo_u32 v6, s0, v3
	v_mul_lo_u32 v7, s1, v2
	v_mad_u64_u32 v[4:5], s[0:1], s0, v2, v[4:5]
	v_mul_lo_u32 v3, s24, v3
	v_mul_lo_u32 v8, s25, v2
	v_mad_u64_u32 v[120:121], s[0:1], s24, v2, v[120:121]
	s_add_u32 s22, s22, 1
	s_addc_u32 s23, s23, 0
	s_add_u32 s2, s2, 8
	v_add3_u32 v121, v8, v121, v3
	s_addc_u32 s3, s3, 0
	v_mov_b32_e32 v2, s14
	s_add_u32 s6, s6, 8
	v_mov_b32_e32 v3, s15
	s_addc_u32 s7, s7, 0
	v_cmp_ge_u64_e32 vcc, s[22:23], v[2:3]
	s_add_u32 s20, s20, 8
	v_add3_u32 v5, v7, v5, v6
	s_addc_u32 s21, s21, 0
	s_cbranch_vccnz .LBB0_8
; %bb.7:                                ;   in Loop: Header=BB0_2 Depth=1
	v_mov_b32_e32 v6, v122
	v_mov_b32_e32 v7, v123
	s_branch .LBB0_2
.LBB0_8:
	s_load_dwordx2 s[0:1], s[4:5], 0x28
	s_lshl_b64 s[6:7], s[14:15], 3
	s_add_u32 s2, s18, s6
	s_addc_u32 s3, s19, s7
                                        ; implicit-def: $vgpr125
                                        ; implicit-def: $vgpr126
                                        ; implicit-def: $vgpr127
	s_waitcnt lgkmcnt(0)
	v_cmp_gt_u64_e32 vcc, s[0:1], v[122:123]
	v_cmp_le_u64_e64 s[0:1], s[0:1], v[122:123]
	s_and_saveexec_b64 s[4:5], s[0:1]
	s_xor_b64 s[0:1], exec, s[4:5]
; %bb.9:
	s_mov_b32 s4, 0x33333334
	v_mul_hi_u32 v1, v0, s4
                                        ; implicit-def: $vgpr4_vgpr5
	v_mul_u32_u24_e32 v1, 5, v1
	v_sub_u32_e32 v125, v0, v1
	v_or_b32_e32 v126, 40, v125
	v_or_b32_e32 v127, 0x50, v125
                                        ; implicit-def: $vgpr0
; %bb.10:
	s_or_saveexec_b64 s[4:5], s[0:1]
                                        ; implicit-def: $vgpr22_vgpr23
                                        ; implicit-def: $vgpr38_vgpr39
                                        ; implicit-def: $vgpr14_vgpr15
                                        ; implicit-def: $vgpr34_vgpr35
                                        ; implicit-def: $vgpr10_vgpr11
                                        ; implicit-def: $vgpr30_vgpr31
                                        ; implicit-def: $vgpr6_vgpr7
                                        ; implicit-def: $vgpr26_vgpr27
                                        ; implicit-def: $vgpr2_vgpr3
                                        ; implicit-def: $vgpr18_vgpr19
                                        ; implicit-def: $vgpr78_vgpr79
                                        ; implicit-def: $vgpr70_vgpr71
                                        ; implicit-def: $vgpr74_vgpr75
                                        ; implicit-def: $vgpr62_vgpr63
                                        ; implicit-def: $vgpr66_vgpr67
                                        ; implicit-def: $vgpr54_vgpr55
                                        ; implicit-def: $vgpr58_vgpr59
                                        ; implicit-def: $vgpr42_vgpr43
                                        ; implicit-def: $vgpr50_vgpr51
                                        ; implicit-def: $vgpr46_vgpr47
                                        ; implicit-def: $vgpr118_vgpr119
                                        ; implicit-def: $vgpr102_vgpr103
                                        ; implicit-def: $vgpr114_vgpr115
                                        ; implicit-def: $vgpr98_vgpr99
                                        ; implicit-def: $vgpr110_vgpr111
                                        ; implicit-def: $vgpr90_vgpr91
                                        ; implicit-def: $vgpr106_vgpr107
                                        ; implicit-def: $vgpr86_vgpr87
                                        ; implicit-def: $vgpr94_vgpr95
                                        ; implicit-def: $vgpr82_vgpr83
	s_xor_b64 exec, exec, s[4:5]
	s_cbranch_execz .LBB0_12
; %bb.11:
	s_add_u32 s0, s16, s6
	s_addc_u32 s1, s17, s7
	s_load_dwordx2 s[0:1], s[0:1], 0x0
	s_mov_b32 s6, 0x33333334
	v_mul_hi_u32 v3, v0, s6
	s_waitcnt lgkmcnt(0)
	v_mul_lo_u32 v6, s1, v122
	v_mul_lo_u32 v7, s0, v123
	v_mad_u64_u32 v[1:2], s[0:1], s0, v122, 0
	v_mul_u32_u24_e32 v3, 5, v3
	v_sub_u32_e32 v125, v0, v3
	v_add3_u32 v2, v2, v7, v6
	v_lshlrev_b64 v[0:1], 4, v[1:2]
	v_mov_b32_e32 v2, s9
	v_add_co_u32_e64 v3, s[0:1], s8, v0
	v_addc_co_u32_e64 v2, s[0:1], v2, v1, s[0:1]
	v_lshlrev_b64 v[0:1], 4, v[4:5]
	v_add_co_u32_e64 v0, s[0:1], v3, v0
	v_addc_co_u32_e64 v1, s[0:1], v2, v1, s[0:1]
	v_lshlrev_b32_e32 v2, 4, v125
	v_add_co_u32_e64 v126, s[0:1], v0, v2
	v_addc_co_u32_e64 v127, s[0:1], 0, v1, s[0:1]
	global_load_dwordx4 v[80:83], v[126:127], off
	global_load_dwordx4 v[44:47], v[126:127], off offset:80
	global_load_dwordx4 v[84:87], v[126:127], off offset:480
	;; [unrolled: 1-line block ×29, first 2 shown]
	v_or_b32_e32 v127, 0x50, v125
	v_or_b32_e32 v126, 40, v125
.LBB0_12:
	s_or_b64 exec, exec, s[4:5]
	s_waitcnt vmcnt(23)
	v_add_f64 v[128:129], v[96:97], v[88:89]
	v_add_f64 v[130:131], v[84:85], v[80:81]
	s_waitcnt vmcnt(21)
	v_add_f64 v[132:133], v[86:87], -v[102:103]
	v_add_f64 v[140:141], v[100:101], v[84:85]
	s_mov_b32 s0, 0xaaaaaaab
	s_mov_b32 s6, 0x134454ff
	;; [unrolled: 1-line block ×3, first 2 shown]
	v_mul_hi_u32 v144, v124, s0
	v_fma_f64 v[128:129], v[128:129], -0.5, v[80:81]
	v_add_f64 v[130:131], v[88:89], v[130:131]
	s_mov_b32 s15, 0xbfee6f0e
	s_mov_b32 s14, s6
	v_add_f64 v[134:135], v[90:91], -v[98:99]
	v_add_f64 v[136:137], v[84:85], -v[88:89]
	;; [unrolled: 1-line block ×3, first 2 shown]
	v_fma_f64 v[80:81], v[140:141], -0.5, v[80:81]
	v_fma_f64 v[142:143], v[132:133], s[6:7], v[128:129]
	v_add_f64 v[130:131], v[96:97], v[130:131]
	v_fma_f64 v[128:129], v[132:133], s[14:15], v[128:129]
	v_add_f64 v[148:149], v[86:87], v[82:83]
	v_lshrrev_b32_e32 v144, 3, v144
	v_mul_lo_u32 v144, v144, 12
	s_mov_b32 s4, 0x4755a5e
	s_mov_b32 s5, 0x3fe2cf23
	s_mov_b32 s17, 0xbfe2cf23
	s_mov_b32 s16, s4
	v_add_f64 v[136:137], v[138:139], v[136:137]
	v_fma_f64 v[138:139], v[134:135], s[4:5], v[142:143]
	v_add_f64 v[140:141], v[98:99], v[90:91]
	v_sub_u32_e32 v124, v124, v144
	v_add_f64 v[130:131], v[100:101], v[130:131]
	v_fma_f64 v[142:143], v[134:135], s[14:15], v[80:81]
	v_add_f64 v[144:145], v[88:89], -v[84:85]
	v_add_f64 v[146:147], v[96:97], -v[100:101]
	;; [unrolled: 1-line block ×3, first 2 shown]
	v_fma_f64 v[100:101], v[134:135], s[16:17], v[128:129]
	v_fma_f64 v[80:81], v[134:135], s[6:7], v[80:81]
	v_add_f64 v[134:135], v[90:91], v[148:149]
	s_mov_b32 s8, 0x372fe950
	s_mov_b32 s9, 0x3fd3c6ef
	v_fma_f64 v[138:139], v[136:137], s[8:9], v[138:139]
	v_fma_f64 v[140:141], v[140:141], -0.5, v[82:83]
	v_fma_f64 v[128:129], v[132:133], s[4:5], v[142:143]
	v_add_f64 v[142:143], v[146:147], v[144:145]
	v_fma_f64 v[136:137], v[136:137], s[8:9], v[100:101]
	v_add_f64 v[100:101], v[102:103], v[86:87]
	;; [unrolled: 2-line block ×3, first 2 shown]
	s_waitcnt vmcnt(7)
	v_add_f64 v[134:135], v[112:113], v[108:109]
	v_fma_f64 v[144:145], v[84:85], s[14:15], v[140:141]
	v_add_f64 v[88:89], v[88:89], -v[96:97]
	v_add_f64 v[96:97], v[86:87], -v[90:91]
	;; [unrolled: 1-line block ×3, first 2 shown]
	v_fma_f64 v[128:129], v[142:143], s[8:9], v[128:129]
	v_fma_f64 v[140:141], v[84:85], s[6:7], v[140:141]
	v_fma_f64 v[82:83], v[100:101], -0.5, v[82:83]
	v_fma_f64 v[142:143], v[142:143], s[8:9], v[80:81]
	v_add_f64 v[80:81], v[104:105], v[92:93]
	v_fma_f64 v[100:101], v[134:135], -0.5, v[92:93]
	s_waitcnt vmcnt(3)
	v_add_f64 v[134:135], v[106:107], -v[118:119]
	v_fma_f64 v[144:145], v[88:89], s[16:17], v[144:145]
	v_add_f64 v[96:97], v[146:147], v[96:97]
	v_add_f64 v[132:133], v[102:103], v[132:133]
	v_fma_f64 v[140:141], v[88:89], s[4:5], v[140:141]
	v_fma_f64 v[146:147], v[88:89], s[6:7], v[82:83]
	v_add_f64 v[86:87], v[90:91], -v[86:87]
	v_add_f64 v[90:91], v[98:99], -v[102:103]
	v_fma_f64 v[82:83], v[88:89], s[14:15], v[82:83]
	v_add_f64 v[80:81], v[108:109], v[80:81]
	v_fma_f64 v[88:89], v[134:135], s[6:7], v[100:101]
	v_add_f64 v[98:99], v[110:111], -v[114:115]
	v_add_f64 v[102:103], v[104:105], -v[108:109]
	v_add_f64 v[148:149], v[116:117], -v[112:113]
	v_fma_f64 v[100:101], v[134:135], s[14:15], v[100:101]
	v_add_f64 v[150:151], v[116:117], v[104:105]
	v_fma_f64 v[146:147], v[84:85], s[16:17], v[146:147]
	v_add_f64 v[86:87], v[90:91], v[86:87]
	;; [unrolled: 2-line block ×4, first 2 shown]
	v_fma_f64 v[90:91], v[98:99], s[16:17], v[100:101]
	v_fma_f64 v[144:145], v[96:97], s[8:9], v[144:145]
	v_fma_f64 v[92:93], v[150:151], -0.5, v[92:93]
	v_fma_f64 v[140:141], v[96:97], s[8:9], v[140:141]
	v_add_f64 v[96:97], v[114:115], v[110:111]
	v_fma_f64 v[148:149], v[86:87], s[8:9], v[82:83]
	v_add_f64 v[82:83], v[116:117], v[80:81]
	v_fma_f64 v[80:81], v[88:89], s[8:9], v[84:85]
	v_fma_f64 v[84:85], v[88:89], s[8:9], v[90:91]
	v_add_f64 v[88:89], v[118:119], v[106:107]
	v_fma_f64 v[146:147], v[86:87], s[8:9], v[146:147]
	v_fma_f64 v[86:87], v[98:99], s[14:15], v[92:93]
	v_fma_f64 v[90:91], v[96:97], -0.5, v[94:95]
	v_add_f64 v[96:97], v[104:105], -v[116:117]
	v_add_f64 v[100:101], v[108:109], -v[104:105]
	;; [unrolled: 1-line block ×3, first 2 shown]
	v_fma_f64 v[92:93], v[98:99], s[6:7], v[92:93]
	v_add_f64 v[98:99], v[106:107], v[94:95]
	v_add_f64 v[104:105], v[108:109], -v[112:113]
	v_fma_f64 v[88:89], v[88:89], -0.5, v[94:95]
	v_fma_f64 v[86:87], v[134:135], s[4:5], v[86:87]
	v_add_f64 v[108:109], v[106:107], -v[110:111]
	v_add_f64 v[106:107], v[110:111], -v[106:107]
	v_add_f64 v[100:101], v[102:103], v[100:101]
	v_fma_f64 v[92:93], v[134:135], s[16:17], v[92:93]
	v_add_f64 v[98:99], v[110:111], v[98:99]
	v_add_f64 v[110:111], v[114:115], -v[118:119]
	v_fma_f64 v[102:103], v[104:105], s[6:7], v[88:89]
	v_fma_f64 v[88:89], v[104:105], s[14:15], v[88:89]
	;; [unrolled: 1-line block ×3, first 2 shown]
	v_add_f64 v[112:113], v[118:119], -v[114:115]
	v_fma_f64 v[86:87], v[100:101], s[8:9], v[86:87]
	v_fma_f64 v[92:93], v[100:101], s[8:9], v[92:93]
	;; [unrolled: 1-line block ×3, first 2 shown]
	s_mov_b32 s0, 0x9b97f4a8
	v_fma_f64 v[100:101], v[96:97], s[16:17], v[102:103]
	v_add_f64 v[102:103], v[110:111], v[106:107]
	v_fma_f64 v[88:89], v[96:97], s[4:5], v[88:89]
	v_fma_f64 v[94:95], v[104:105], s[16:17], v[94:95]
	v_add_f64 v[108:109], v[112:113], v[108:109]
	s_mov_b32 s1, 0x3fe9e377
	v_fma_f64 v[90:91], v[104:105], s[4:5], v[90:91]
	v_mul_f64 v[104:105], v[86:87], s[8:9]
	v_add_f64 v[98:99], v[114:115], v[98:99]
	v_fma_f64 v[106:107], v[102:103], s[8:9], v[100:101]
	v_fma_f64 v[88:89], v[102:103], s[8:9], v[88:89]
	v_mul_f64 v[102:103], v[92:93], s[8:9]
	v_fma_f64 v[94:95], v[108:109], s[8:9], v[94:95]
	v_mul_f64 v[96:97], v[80:81], s[0:1]
	;; [unrolled: 2-line block ×3, first 2 shown]
	v_add_f64 v[100:101], v[82:83], v[130:131]
	v_fma_f64 v[112:113], v[106:107], s[6:7], v[104:105]
	v_mul_f64 v[110:111], v[88:89], s[8:9]
	v_mul_f64 v[80:81], v[80:81], s[16:17]
	;; [unrolled: 1-line block ×3, first 2 shown]
	v_fma_f64 v[134:135], v[88:89], s[6:7], -v[102:103]
	v_mul_f64 v[114:115], v[90:91], s[0:1]
	v_fma_f64 v[150:151], v[90:91], s[4:5], -v[108:109]
	v_add_f64 v[160:161], v[42:43], -v[70:71]
	v_add_f64 v[98:99], v[118:119], v[98:99]
	v_fma_f64 v[92:93], v[92:93], s[14:15], -v[110:111]
	v_add_f64 v[110:111], v[60:61], v[52:53]
	v_fma_f64 v[96:97], v[94:95], s[4:5], v[96:97]
	v_add_f64 v[104:105], v[128:129], v[112:113]
	v_fma_f64 v[94:95], v[94:95], s[0:1], v[80:81]
	v_fma_f64 v[152:153], v[106:107], s[8:9], v[86:87]
	v_fma_f64 v[154:155], v[84:85], s[16:17], -v[114:115]
	v_add_f64 v[106:107], v[142:143], v[134:135]
	v_add_f64 v[108:109], v[136:137], v[150:151]
	v_fma_f64 v[158:159], v[110:111], -0.5, v[44:45]
	v_add_f64 v[110:111], v[130:131], -v[82:83]
	v_add_f64 v[130:131], v[68:69], v[40:41]
	v_add_f64 v[156:157], v[40:41], v[44:45]
	v_add_f64 v[118:119], v[128:129], -v[112:113]
	v_add_f64 v[112:113], v[142:143], -v[134:135]
	;; [unrolled: 1-line block ×4, first 2 shown]
	v_fma_f64 v[134:135], v[160:161], s[6:7], v[158:159]
	v_add_f64 v[102:103], v[138:139], v[96:97]
	v_fma_f64 v[44:45], v[130:131], -0.5, v[44:45]
	v_add_f64 v[88:89], v[98:99], v[132:133]
	v_add_f64 v[90:91], v[144:145], v[94:95]
	;; [unrolled: 1-line block ×5, first 2 shown]
	v_add_f64 v[116:117], v[138:139], -v[96:97]
	v_add_f64 v[128:129], v[52:53], v[156:157]
	v_add_f64 v[82:83], v[132:133], -v[98:99]
	v_add_f64 v[96:97], v[144:145], -v[94:95]
	;; [unrolled: 1-line block ×5, first 2 shown]
	v_fma_f64 v[130:131], v[136:137], s[4:5], v[134:135]
	v_add_f64 v[132:133], v[40:41], -v[52:53]
	v_add_f64 v[134:135], v[42:43], v[46:47]
	v_add_f64 v[140:141], v[68:69], -v[60:61]
	v_fma_f64 v[142:143], v[160:161], s[14:15], v[158:159]
	v_fma_f64 v[144:145], v[136:137], s[14:15], v[44:45]
	v_add_f64 v[146:147], v[52:53], -v[40:41]
	v_add_f64 v[148:149], v[60:61], -v[68:69]
	v_add_f64 v[128:129], v[60:61], v[128:129]
	v_add_f64 v[138:139], v[62:63], v[54:55]
	v_fma_f64 v[44:45], v[136:137], s[6:7], v[44:45]
	v_add_f64 v[134:135], v[54:55], v[134:135]
	v_add_f64 v[132:133], v[140:141], v[132:133]
	v_fma_f64 v[136:137], v[136:137], s[16:17], v[142:143]
	v_fma_f64 v[140:141], v[160:161], s[4:5], v[144:145]
	v_add_f64 v[142:143], v[148:149], v[146:147]
	v_add_f64 v[144:145], v[70:71], v[42:43]
	v_fma_f64 v[138:139], v[138:139], -0.5, v[46:47]
	v_add_f64 v[40:41], v[40:41], -v[68:69]
	v_fma_f64 v[44:45], v[160:161], s[16:17], v[44:45]
	v_add_f64 v[134:135], v[62:63], v[134:135]
	v_add_f64 v[52:53], v[52:53], -v[60:61]
	v_add_f64 v[68:69], v[68:69], v[128:129]
	v_fma_f64 v[128:129], v[132:133], s[8:9], v[130:131]
	v_fma_f64 v[130:131], v[132:133], s[8:9], v[136:137]
	;; [unrolled: 1-line block ×3, first 2 shown]
	v_fma_f64 v[46:47], v[144:145], -0.5, v[46:47]
	v_add_f64 v[140:141], v[72:73], v[64:65]
	v_fma_f64 v[146:147], v[40:41], s[14:15], v[138:139]
	v_fma_f64 v[136:137], v[142:143], s[8:9], v[44:45]
	v_add_f64 v[134:135], v[70:71], v[134:135]
	v_add_f64 v[60:61], v[42:43], -v[54:55]
	v_add_f64 v[142:143], v[70:71], -v[62:63]
	v_fma_f64 v[138:139], v[40:41], s[6:7], v[138:139]
	v_fma_f64 v[144:145], v[52:53], s[6:7], v[46:47]
	v_add_f64 v[42:43], v[54:55], -v[42:43]
	v_add_f64 v[54:55], v[62:63], -v[70:71]
	v_add_f64 v[62:63], v[56:57], v[48:49]
	v_fma_f64 v[46:47], v[52:53], s[14:15], v[46:47]
	v_fma_f64 v[70:71], v[140:141], -0.5, v[48:49]
	s_waitcnt vmcnt(1)
	v_add_f64 v[140:141], v[58:59], -v[78:79]
	v_fma_f64 v[44:45], v[52:53], s[16:17], v[146:147]
	v_add_f64 v[60:61], v[142:143], v[60:61]
	v_fma_f64 v[52:53], v[52:53], s[4:5], v[138:139]
	v_fma_f64 v[138:139], v[40:41], s[16:17], v[144:145]
	v_add_f64 v[42:43], v[54:55], v[42:43]
	v_add_f64 v[54:55], v[64:65], v[62:63]
	v_fma_f64 v[40:41], v[40:41], s[4:5], v[46:47]
	v_add_f64 v[46:47], v[76:77], v[56:57]
	v_fma_f64 v[62:63], v[140:141], s[6:7], v[70:71]
	v_add_f64 v[142:143], v[66:67], -v[74:75]
	v_add_f64 v[144:145], v[56:57], -v[64:65]
	;; [unrolled: 1-line block ×3, first 2 shown]
	v_fma_f64 v[148:149], v[60:61], s[8:9], v[44:45]
	v_add_f64 v[44:45], v[72:73], v[54:55]
	v_fma_f64 v[138:139], v[42:43], s[8:9], v[138:139]
	v_fma_f64 v[46:47], v[46:47], -0.5, v[48:49]
	v_fma_f64 v[152:153], v[42:43], s[8:9], v[40:41]
	v_fma_f64 v[40:41], v[142:143], s[4:5], v[62:63]
	v_add_f64 v[48:49], v[74:75], v[66:67]
	v_add_f64 v[42:43], v[146:147], v[144:145]
	;; [unrolled: 1-line block ×3, first 2 shown]
	v_fma_f64 v[150:151], v[60:61], s[8:9], v[52:53]
	v_add_f64 v[62:63], v[76:77], v[44:45]
	v_fma_f64 v[44:45], v[140:141], s[14:15], v[70:71]
	v_add_f64 v[60:61], v[64:65], -v[56:57]
	v_add_f64 v[70:71], v[72:73], -v[76:77]
	v_fma_f64 v[52:53], v[142:143], s[14:15], v[46:47]
	v_fma_f64 v[144:145], v[42:43], s[8:9], v[40:41]
	v_fma_f64 v[40:41], v[48:49], -0.5, v[50:51]
	v_add_f64 v[48:49], v[56:57], -v[76:77]
	v_add_f64 v[56:57], v[64:65], -v[72:73]
	v_fma_f64 v[54:55], v[54:55], -0.5, v[50:51]
	v_add_f64 v[50:51], v[58:59], v[50:51]
	v_fma_f64 v[44:45], v[142:143], s[16:17], v[44:45]
	v_add_f64 v[60:61], v[70:71], v[60:61]
	v_fma_f64 v[46:47], v[142:143], s[6:7], v[46:47]
	v_add_f64 v[70:71], v[58:59], -v[66:67]
	v_fma_f64 v[64:65], v[48:49], s[14:15], v[40:41]
	v_add_f64 v[72:73], v[78:79], -v[74:75]
	;; [unrolled: 2-line block ×3, first 2 shown]
	v_add_f64 v[142:143], v[74:75], -v[78:79]
	v_add_f64 v[50:51], v[66:67], v[50:51]
	v_fma_f64 v[40:41], v[48:49], s[6:7], v[40:41]
	v_fma_f64 v[54:55], v[56:57], s[14:15], v[54:55]
	;; [unrolled: 1-line block ×3, first 2 shown]
	v_add_f64 v[66:67], v[72:73], v[70:71]
	v_fma_f64 v[70:71], v[48:49], s[16:17], v[76:77]
	v_fma_f64 v[72:73], v[42:43], s[8:9], v[44:45]
	v_add_f64 v[58:59], v[142:143], v[58:59]
	v_add_f64 v[44:45], v[74:75], v[50:51]
	v_fma_f64 v[40:41], v[56:57], s[4:5], v[40:41]
	v_fma_f64 v[48:49], v[48:49], s[4:5], v[54:55]
	;; [unrolled: 1-line block ×5, first 2 shown]
	v_mul_f64 v[54:55], v[144:145], s[0:1]
	v_add_f64 v[158:159], v[26:27], -v[38:39]
	v_add_f64 v[74:75], v[78:79], v[44:45]
	v_fma_f64 v[44:45], v[66:67], s[8:9], v[40:41]
	v_fma_f64 v[48:49], v[58:59], s[8:9], v[48:49]
	;; [unrolled: 1-line block ×5, first 2 shown]
	v_mul_f64 v[58:59], v[46:47], s[8:9]
	v_add_f64 v[40:41], v[62:63], v[68:69]
	v_mul_f64 v[60:61], v[72:73], s[0:1]
	v_mul_f64 v[76:77], v[44:45], s[0:1]
	;; [unrolled: 1-line block ×4, first 2 shown]
	v_fma_f64 v[64:65], v[50:51], s[4:5], v[54:55]
	v_mul_f64 v[54:55], v[144:145], s[16:17]
	v_fma_f64 v[78:79], v[48:49], s[6:7], -v[58:59]
	v_mul_u32_u24_e32 v124, 0x96, v124
	v_fma_f64 v[140:141], v[44:45], s[4:5], -v[60:61]
	v_fma_f64 v[154:155], v[72:73], s[16:17], -v[76:77]
	;; [unrolled: 1-line block ×3, first 2 shown]
	v_add_f64 v[70:71], v[32:33], v[28:29]
	v_add_f64 v[76:77], v[24:25], v[16:17]
	v_fma_f64 v[66:67], v[52:53], s[6:7], v[56:57]
	v_mul_f64 v[56:57], v[42:43], s[14:15]
	v_add_f64 v[42:43], v[128:129], v[64:65]
	v_fma_f64 v[142:143], v[50:51], s[0:1], v[54:55]
	v_add_f64 v[46:47], v[136:137], v[78:79]
	v_add_f64 v[50:51], v[68:69], -v[62:63]
	v_fma_f64 v[156:157], v[70:71], -0.5, v[16:17]
	v_add_f64 v[64:65], v[128:129], -v[64:65]
	v_add_f64 v[69:70], v[136:137], -v[78:79]
	v_add_f64 v[77:78], v[28:29], v[76:77]
	v_add_f64 v[128:129], v[36:37], v[24:25]
	;; [unrolled: 1-line block ×3, first 2 shown]
	v_fma_f64 v[144:145], v[52:53], s[8:9], v[56:57]
	v_add_f64 v[52:53], v[74:75], v[134:135]
	v_add_f64 v[66:67], v[132:133], -v[66:67]
	v_add_f64 v[62:63], v[134:135], -v[74:75]
	;; [unrolled: 1-line block ×5, first 2 shown]
	v_add_f64 v[77:78], v[32:33], v[77:78]
	v_fma_f64 v[16:17], v[128:129], -0.5, v[16:17]
	v_add_f64 v[48:49], v[130:131], v[140:141]
	v_add_f64 v[54:55], v[148:149], v[142:143]
	;; [unrolled: 1-line block ×4, first 2 shown]
	v_add_f64 v[71:72], v[130:131], -v[140:141]
	v_fma_f64 v[130:131], v[158:159], s[6:7], v[156:157]
	v_add_f64 v[73:74], v[148:149], -v[142:143]
	v_add_f64 v[75:76], v[138:139], -v[144:145]
	;; [unrolled: 1-line block ×3, first 2 shown]
	v_add_f64 v[134:135], v[136:137], v[134:135]
	v_fma_f64 v[136:137], v[158:159], s[14:15], v[156:157]
	v_add_f64 v[77:78], v[36:37], v[77:78]
	v_fma_f64 v[142:143], v[132:133], s[14:15], v[16:17]
	v_add_f64 v[144:145], v[26:27], v[18:19]
	v_add_f64 v[146:147], v[24:25], -v[36:37]
	v_add_f64 v[24:25], v[28:29], -v[24:25]
	;; [unrolled: 1-line block ×3, first 2 shown]
	v_fma_f64 v[16:17], v[132:133], s[6:7], v[16:17]
	v_add_f64 v[138:139], v[34:35], v[30:31]
	v_fma_f64 v[140:141], v[132:133], s[4:5], v[130:131]
	v_fma_f64 v[136:137], v[132:133], s[16:17], v[136:137]
	;; [unrolled: 1-line block ×3, first 2 shown]
	v_add_f64 v[132:133], v[30:31], v[144:145]
	v_add_f64 v[28:29], v[28:29], -v[32:33]
	v_add_f64 v[24:25], v[36:37], v[24:25]
	v_add_f64 v[36:37], v[38:39], v[26:27]
	v_fma_f64 v[16:17], v[158:159], s[16:17], v[16:17]
	v_fma_f64 v[138:139], v[138:139], -0.5, v[18:19]
	v_fma_f64 v[140:141], v[134:135], s[8:9], v[140:141]
	v_add_f64 v[32:33], v[26:27], -v[30:31]
	v_add_f64 v[148:149], v[38:39], -v[34:35]
	v_add_f64 v[132:133], v[34:35], v[132:133]
	v_fma_f64 v[134:135], v[134:135], s[8:9], v[136:137]
	v_add_f64 v[136:137], v[12:13], v[8:9]
	v_fma_f64 v[142:143], v[24:25], s[8:9], v[142:143]
	v_fma_f64 v[18:19], v[36:37], -0.5, v[18:19]
	v_fma_f64 v[24:25], v[24:25], s[8:9], v[16:17]
	v_add_f64 v[16:17], v[4:5], v[0:1]
	v_fma_f64 v[144:145], v[146:147], s[14:15], v[138:139]
	v_add_f64 v[32:33], v[148:149], v[32:33]
	v_add_f64 v[36:37], v[38:39], v[132:133]
	v_fma_f64 v[132:133], v[136:137], -0.5, v[0:1]
	s_waitcnt vmcnt(0)
	v_add_f64 v[136:137], v[6:7], -v[22:23]
	v_fma_f64 v[138:139], v[146:147], s[6:7], v[138:139]
	v_fma_f64 v[148:149], v[28:29], s[6:7], v[18:19]
	v_add_f64 v[26:27], v[30:31], -v[26:27]
	v_add_f64 v[30:31], v[34:35], -v[38:39]
	v_fma_f64 v[18:19], v[28:29], s[14:15], v[18:19]
	v_add_f64 v[16:17], v[8:9], v[16:17]
	v_add_f64 v[60:61], v[150:151], v[154:155]
	v_add_f64 v[130:131], v[150:151], -v[154:155]
	v_fma_f64 v[144:145], v[28:29], s[16:17], v[144:145]
	v_fma_f64 v[34:35], v[136:137], s[6:7], v[132:133]
	v_add_f64 v[38:39], v[10:11], -v[14:15]
	v_add_f64 v[150:151], v[4:5], -v[8:9]
	;; [unrolled: 1-line block ×3, first 2 shown]
	v_fma_f64 v[28:29], v[28:29], s[4:5], v[138:139]
	v_add_f64 v[138:139], v[20:21], v[4:5]
	v_fma_f64 v[148:149], v[146:147], s[16:17], v[148:149]
	v_add_f64 v[26:27], v[30:31], v[26:27]
	;; [unrolled: 2-line block ×4, first 2 shown]
	v_fma_f64 v[132:133], v[136:137], s[14:15], v[132:133]
	v_fma_f64 v[0:1], v[138:139], -0.5, v[0:1]
	v_fma_f64 v[144:145], v[32:33], s[8:9], v[144:145]
	v_fma_f64 v[138:139], v[26:27], s[8:9], v[148:149]
	;; [unrolled: 1-line block ×3, first 2 shown]
	v_add_f64 v[26:27], v[20:21], v[16:17]
	v_add_f64 v[16:17], v[14:15], v[10:11]
	;; [unrolled: 1-line block ×3, first 2 shown]
	v_fma_f64 v[28:29], v[32:33], s[8:9], v[28:29]
	v_fma_f64 v[18:19], v[34:35], s[8:9], v[30:31]
	;; [unrolled: 1-line block ×4, first 2 shown]
	v_add_f64 v[132:133], v[8:9], -v[4:5]
	v_add_f64 v[150:151], v[12:13], -v[20:21]
	v_add_f64 v[152:153], v[6:7], v[2:3]
	v_fma_f64 v[16:17], v[16:17], -0.5, v[2:3]
	v_add_f64 v[4:5], v[4:5], -v[20:21]
	v_add_f64 v[8:9], v[8:9], -v[12:13]
	v_fma_f64 v[2:3], v[148:149], -0.5, v[2:3]
	v_fma_f64 v[20:21], v[34:35], s[8:9], v[30:31]
	v_fma_f64 v[30:31], v[136:137], s[4:5], v[32:33]
	v_add_f64 v[12:13], v[150:151], v[132:133]
	v_fma_f64 v[0:1], v[38:39], s[6:7], v[0:1]
	v_add_f64 v[32:33], v[10:11], v[152:153]
	v_fma_f64 v[34:35], v[4:5], s[14:15], v[16:17]
	v_add_f64 v[38:39], v[6:7], -v[10:11]
	v_add_f64 v[132:133], v[22:23], -v[14:15]
	v_fma_f64 v[16:17], v[4:5], s[6:7], v[16:17]
	v_fma_f64 v[148:149], v[8:9], s[6:7], v[2:3]
	v_add_f64 v[6:7], v[10:11], -v[6:7]
	v_add_f64 v[10:11], v[14:15], -v[22:23]
	v_fma_f64 v[2:3], v[8:9], s[14:15], v[2:3]
	v_add_f64 v[14:15], v[14:15], v[32:33]
	v_fma_f64 v[32:33], v[8:9], s[16:17], v[34:35]
	v_add_f64 v[34:35], v[132:133], v[38:39]
	v_fma_f64 v[8:9], v[8:9], s[4:5], v[16:17]
	v_fma_f64 v[0:1], v[136:137], s[16:17], v[0:1]
	;; [unrolled: 1-line block ×3, first 2 shown]
	v_add_f64 v[6:7], v[10:11], v[6:7]
	v_fma_f64 v[2:3], v[4:5], s[4:5], v[2:3]
	v_fma_f64 v[4:5], v[12:13], s[8:9], v[30:31]
	v_add_f64 v[30:31], v[22:23], v[14:15]
	v_mul_f64 v[14:15], v[18:19], s[0:1]
	v_fma_f64 v[8:9], v[34:35], s[8:9], v[8:9]
	v_fma_f64 v[10:11], v[12:13], s[8:9], v[0:1]
	;; [unrolled: 1-line block ×3, first 2 shown]
	v_mul_f64 v[32:33], v[20:21], s[0:1]
	v_fma_f64 v[2:3], v[6:7], s[8:9], v[2:3]
	v_fma_f64 v[16:17], v[6:7], s[8:9], v[16:17]
	v_mul_f64 v[6:7], v[4:5], s[8:9]
	v_mul_f64 v[18:19], v[18:19], s[16:17]
	;; [unrolled: 1-line block ×5, first 2 shown]
	v_fma_f64 v[148:149], v[8:9], s[4:5], -v[32:33]
	v_mul_f64 v[34:35], v[2:3], s[8:9]
	v_fma_f64 v[14:15], v[12:13], s[4:5], v[14:15]
	v_fma_f64 v[132:133], v[16:17], s[6:7], v[6:7]
	;; [unrolled: 1-line block ×3, first 2 shown]
	v_fma_f64 v[156:157], v[20:21], s[16:17], -v[38:39]
	v_fma_f64 v[136:137], v[2:3], s[6:7], -v[22:23]
	v_fma_f64 v[152:153], v[16:17], s[8:9], v[4:5]
	v_add_f64 v[0:1], v[26:27], v[77:78]
	v_fma_f64 v[154:155], v[10:11], s[14:15], -v[34:35]
	v_add_f64 v[8:9], v[134:135], v[148:149]
	v_add_f64 v[10:11], v[77:78], -v[26:27]
	v_add_f64 v[26:27], v[134:135], -v[148:149]
	v_add_f64 v[32:33], v[28:29], v[156:157]
	v_add_f64 v[134:135], v[28:29], -v[156:157]
	v_lshlrev_b32_e32 v29, 3, v124
	v_mul_u32_u24_e32 v28, 10, v125
	v_add_u32_e32 v68, 0, v29
	v_lshl_add_u32 v77, v28, 3, v68
	s_load_dwordx2 s[2:3], s[2:3], 0x0
	v_add_f64 v[2:3], v[140:141], v[14:15]
	v_add_f64 v[4:5], v[142:143], v[132:133]
	;; [unrolled: 1-line block ×3, first 2 shown]
	v_add_f64 v[12:13], v[140:141], -v[14:15]
	v_add_f64 v[14:15], v[142:143], -v[132:133]
	;; [unrolled: 1-line block ×3, first 2 shown]
	ds_write_b128 v77, v[100:103]
	ds_write_b128 v77, v[104:107] offset:16
	ds_write_b128 v77, v[108:111] offset:32
	;; [unrolled: 1-line block ×14, first 2 shown]
	v_lshlrev_b32_e32 v0, 3, v125
	v_add_u32_e32 v101, v68, v0
	v_add3_u32 v100, 0, v0, v29
	v_add_f64 v[16:17], v[30:31], v[36:37]
	v_add_f64 v[18:19], v[144:145], v[150:151]
	;; [unrolled: 1-line block ×4, first 2 shown]
	v_add_f64 v[34:35], v[36:37], -v[30:31]
	v_add_f64 v[36:37], v[144:145], -v[150:151]
	;; [unrolled: 1-line block ×4, first 2 shown]
	s_waitcnt lgkmcnt(0)
	; wave barrier
	s_waitcnt lgkmcnt(0)
	ds_read2_b64 v[0:3], v100 offset0:25 offset1:30
	ds_read2_b64 v[42:45], v100 offset0:60 offset1:65
	ds_read2_b64 v[46:49], v100 offset0:90 offset1:95
	ds_read2_b64 v[64:67], v100 offset0:120 offset1:125
	ds_read2_b64 v[103:106], v100 offset0:35 offset1:45
	ds_read2_b64 v[12:15], v100 offset0:5 offset1:10
	v_lshl_add_u32 v102, v126, 3, v68
	ds_read_b64 v[40:41], v101
	ds_read_b64 v[204:205], v102
	ds_read2_b64 v[107:110], v100 offset0:70 offset1:75
	ds_read2_b64 v[111:114], v100 offset0:100 offset1:105
	;; [unrolled: 1-line block ×8, first 2 shown]
	s_waitcnt lgkmcnt(0)
	; wave barrier
	s_waitcnt lgkmcnt(0)
	ds_write_b128 v77, v[88:91]
	ds_write_b128 v77, v[84:87] offset:16
	ds_write_b128 v77, v[80:83] offset:32
	;; [unrolled: 1-line block ×14, first 2 shown]
	v_lshlrev_b32_e32 v84, 2, v125
	v_mov_b32_e32 v85, 0
	v_lshlrev_b64 v[8:9], 4, v[84:85]
	v_mov_b32_e32 v10, s13
	v_add_co_u32_e64 v8, s[0:1], s12, v8
	v_addc_co_u32_e64 v9, s[0:1], v10, v9, s[0:1]
	s_waitcnt lgkmcnt(0)
	; wave barrier
	s_waitcnt lgkmcnt(0)
	global_load_dwordx4 v[32:35], v[8:9], off
	global_load_dwordx4 v[36:39], v[8:9], off offset:16
	global_load_dwordx4 v[50:53], v[8:9], off offset:48
	;; [unrolled: 1-line block ×3, first 2 shown]
	v_add_u32_e32 v89, 5, v125
	v_lshlrev_b32_e32 v84, 2, v89
	v_lshlrev_b64 v[8:9], 4, v[84:85]
	v_add_u32_e32 v94, 20, v125
	v_add_co_u32_e64 v8, s[0:1], s12, v8
	v_addc_co_u32_e64 v9, s[0:1], v10, v9, s[0:1]
	global_load_dwordx4 v[58:61], v[8:9], off
	global_load_dwordx4 v[71:74], v[8:9], off offset:16
	global_load_dwordx4 v[75:78], v[8:9], off offset:32
	;; [unrolled: 1-line block ×3, first 2 shown]
	s_movk_i32 s0, 0xcd
	v_mul_lo_u16_sdwa v16, v94, s0 dst_sel:DWORD dst_unused:UNUSED_PAD src0_sel:BYTE_0 src1_sel:DWORD
	v_lshrrev_b16_e32 v16, 11, v16
	v_mul_lo_u16_e32 v16, 10, v16
	v_sub_u16_e32 v16, v94, v16
	v_and_b32_e32 v69, 0xff, v16
	v_lshlrev_b32_e32 v70, 6, v69
	ds_read2_b64 v[8:11], v100 offset0:25 offset1:30
	ds_read2_b64 v[90:93], v100 offset0:60 offset1:65
	;; [unrolled: 1-line block ×6, first 2 shown]
	ds_read_b64 v[62:63], v101
	ds_read_b64 v[83:84], v102
	ds_read2_b64 v[144:147], v100 offset0:70 offset1:75
	global_load_dwordx4 v[148:151], v70, s[12:13] offset:16
	global_load_dwordx4 v[152:155], v70, s[12:13]
	ds_read2_b64 v[156:159], v100 offset0:100 offset1:105
	ds_read2_b64 v[160:163], v100 offset0:130 offset1:135
	;; [unrolled: 1-line block ×3, first 2 shown]
	global_load_dwordx4 v[164:167], v70, s[12:13] offset:48
	global_load_dwordx4 v[168:171], v70, s[12:13] offset:32
	v_add_u32_e32 v95, 25, v125
	v_mul_lo_u16_sdwa v70, v95, s0 dst_sel:DWORD dst_unused:UNUSED_PAD src0_sel:BYTE_0 src1_sel:DWORD
	v_lshrrev_b16_e32 v70, 11, v70
	v_mul_lo_u16_e32 v70, 10, v70
	v_sub_u16_e32 v70, v95, v70
	v_and_b32_e32 v70, 0xff, v70
	v_lshlrev_b32_e32 v88, 6, v70
	global_load_dwordx4 v[172:175], v88, s[12:13] offset:16
	global_load_dwordx4 v[176:179], v88, s[12:13]
	ds_read2_b64 v[180:183], v100 offset0:50 offset1:55
	ds_read2_b64 v[184:187], v100 offset0:80 offset1:85
	;; [unrolled: 1-line block ×4, first 2 shown]
	v_lshl_add_u32 v69, v69, 3, v68
	s_movk_i32 s18, 0x96
	s_waitcnt vmcnt(13)
	v_mul_f64 v[196:197], v[2:3], v[34:35]
	s_waitcnt vmcnt(12) lgkmcnt(14)
	v_mul_f64 v[198:199], v[90:91], v[38:39]
	v_mul_f64 v[200:201], v[42:43], v[38:39]
	;; [unrolled: 1-line block ×3, first 2 shown]
	s_waitcnt vmcnt(11) lgkmcnt(12)
	v_mul_f64 v[208:209], v[128:129], v[52:53]
	v_mul_f64 v[210:211], v[64:65], v[52:53]
	v_fma_f64 v[206:207], v[10:11], v[32:33], v[196:197]
	v_fma_f64 v[42:43], v[42:43], v[36:37], -v[198:199]
	v_fma_f64 v[90:91], v[90:91], v[36:37], v[200:201]
	global_load_dwordx4 v[196:199], v88, s[12:13] offset:48
	global_load_dwordx4 v[200:203], v88, s[12:13] offset:32
	v_fma_f64 v[86:87], v[2:3], v[32:33], -v[86:87]
	s_waitcnt vmcnt(12)
	v_mul_f64 v[2:3], v[96:97], v[56:57]
	v_mul_f64 v[10:11], v[46:47], v[56:57]
	s_waitcnt vmcnt(11) lgkmcnt(11)
	v_mul_f64 v[212:213], v[132:133], v[60:61]
	s_waitcnt vmcnt(10)
	v_mul_f64 v[216:217], v[92:93], v[73:74]
	v_mul_f64 v[214:215], v[103:104], v[60:61]
	v_fma_f64 v[64:65], v[64:65], v[50:51], -v[208:209]
	v_fma_f64 v[128:129], v[128:129], v[50:51], v[210:211]
	s_waitcnt vmcnt(8)
	v_mul_f64 v[210:211], v[66:67], v[81:82]
	v_fma_f64 v[46:47], v[46:47], v[54:55], -v[2:3]
	v_mul_f64 v[2:3], v[44:45], v[73:74]
	v_fma_f64 v[96:97], v[96:97], v[54:55], v[10:11]
	v_mul_f64 v[10:11], v[98:99], v[77:78]
	v_fma_f64 v[103:104], v[103:104], v[58:59], -v[212:213]
	v_fma_f64 v[208:209], v[44:45], v[71:72], -v[216:217]
	v_mul_f64 v[44:45], v[130:131], v[81:82]
	s_waitcnt lgkmcnt(8)
	v_mul_f64 v[212:213], v[83:84], v[34:35]
	v_mul_f64 v[34:35], v[204:205], v[34:35]
	v_fma_f64 v[92:93], v[92:93], v[71:72], v[2:3]
	v_mul_f64 v[2:3], v[48:49], v[77:78]
	v_fma_f64 v[216:217], v[48:49], v[75:76], -v[10:11]
	v_mul_f64 v[10:11], v[107:108], v[38:39]
	v_fma_f64 v[132:133], v[132:133], v[58:59], v[214:215]
	s_waitcnt lgkmcnt(7)
	v_mul_f64 v[214:215], v[144:145], v[38:39]
	v_fma_f64 v[218:219], v[66:67], v[79:80], -v[44:45]
	v_fma_f64 v[204:205], v[204:205], v[32:33], -v[212:213]
	v_fma_f64 v[83:84], v[83:84], v[32:33], v[34:35]
	v_fma_f64 v[98:99], v[98:99], v[75:76], v[2:3]
	s_waitcnt lgkmcnt(6)
	v_mul_f64 v[2:3], v[156:157], v[56:57]
	v_fma_f64 v[144:145], v[144:145], v[36:37], v[10:11]
	v_mul_f64 v[10:11], v[111:112], v[56:57]
	s_waitcnt lgkmcnt(5)
	v_mul_f64 v[32:33], v[160:161], v[52:53]
	v_mul_f64 v[34:35], v[115:116], v[52:53]
	;; [unrolled: 1-line block ×3, first 2 shown]
	v_fma_f64 v[107:108], v[107:108], v[36:37], -v[214:215]
	v_mul_f64 v[36:37], v[134:135], v[60:61]
	v_fma_f64 v[111:112], v[111:112], v[54:55], -v[2:3]
	v_mul_f64 v[2:3], v[109:110], v[73:74]
	v_mul_f64 v[38:39], v[105:106], v[60:61]
	v_fma_f64 v[73:74], v[156:157], v[54:55], v[10:11]
	v_fma_f64 v[115:116], v[115:116], v[50:51], -v[32:33]
	v_fma_f64 v[156:157], v[160:161], v[50:51], v[34:35]
	v_fma_f64 v[109:110], v[109:110], v[71:72], -v[44:45]
	v_mul_f64 v[10:11], v[158:159], v[77:78]
	v_mul_f64 v[32:33], v[162:163], v[81:82]
	v_fma_f64 v[71:72], v[146:147], v[71:72], v[2:3]
	v_mul_f64 v[2:3], v[113:114], v[77:78]
	v_mul_f64 v[34:35], v[117:118], v[81:82]
	v_fma_f64 v[130:131], v[130:131], v[79:80], v[210:211]
	v_fma_f64 v[105:106], v[105:106], v[58:59], -v[36:37]
	v_fma_f64 v[134:135], v[134:135], v[58:59], v[38:39]
	s_waitcnt vmcnt(6) lgkmcnt(3)
	v_mul_f64 v[36:37], v[180:181], v[154:155]
	v_mul_f64 v[38:39], v[136:137], v[154:155]
	s_waitcnt lgkmcnt(2)
	v_mul_f64 v[44:45], v[184:185], v[150:151]
	v_fma_f64 v[77:78], v[113:114], v[75:76], -v[10:11]
	v_mul_f64 v[10:11], v[140:141], v[150:151]
	v_fma_f64 v[75:76], v[158:159], v[75:76], v[2:3]
	v_fma_f64 v[81:82], v[117:118], v[79:80], -v[32:33]
	v_fma_f64 v[79:80], v[162:163], v[79:80], v[34:35]
	s_waitcnt vmcnt(4) lgkmcnt(1)
	v_mul_f64 v[2:3], v[188:189], v[170:171]
	s_waitcnt lgkmcnt(0)
	v_mul_f64 v[34:35], v[192:193], v[166:167]
	v_fma_f64 v[52:53], v[136:137], v[152:153], -v[36:37]
	v_fma_f64 v[32:33], v[180:181], v[152:153], v[38:39]
	v_fma_f64 v[48:49], v[140:141], v[148:149], -v[44:45]
	v_fma_f64 v[36:37], v[184:185], v[148:149], v[10:11]
	v_mul_f64 v[10:11], v[28:29], v[170:171]
	v_mul_f64 v[38:39], v[24:25], v[166:167]
	s_waitcnt vmcnt(2)
	v_mul_f64 v[44:45], v[182:183], v[178:179]
	v_mul_f64 v[50:51], v[138:139], v[178:179]
	;; [unrolled: 1-line block ×3, first 2 shown]
	v_fma_f64 v[113:114], v[28:29], v[168:169], -v[2:3]
	v_add_f64 v[28:29], v[42:43], v[46:47]
	v_fma_f64 v[117:118], v[24:25], v[164:165], -v[34:35]
	v_add_f64 v[34:35], v[40:41], v[86:87]
	v_fma_f64 v[54:55], v[188:189], v[168:169], v[10:11]
	v_fma_f64 v[66:67], v[192:193], v[164:165], v[38:39]
	v_fma_f64 v[24:25], v[138:139], v[176:177], -v[44:45]
	v_fma_f64 v[2:3], v[182:183], v[176:177], v[50:51]
	v_fma_f64 v[10:11], v[142:143], v[172:173], -v[56:57]
	v_fma_f64 v[44:45], v[28:29], -0.5, v[40:41]
	v_add_f64 v[50:51], v[206:207], -v[128:129]
	v_mul_f64 v[28:29], v[142:143], v[174:175]
	s_waitcnt vmcnt(0)
	v_mul_f64 v[38:39], v[190:191], v[202:203]
	v_mul_f64 v[56:57], v[30:31], v[202:203]
	;; [unrolled: 1-line block ×4, first 2 shown]
	v_add_f64 v[136:137], v[86:87], v[64:65]
	v_add_f64 v[138:139], v[34:35], v[42:43]
	v_fma_f64 v[140:141], v[50:51], s[6:7], v[44:45]
	v_add_f64 v[142:143], v[90:91], -v[96:97]
	v_fma_f64 v[34:35], v[186:187], v[172:173], v[28:29]
	v_fma_f64 v[30:31], v[30:31], v[200:201], -v[38:39]
	v_fma_f64 v[28:29], v[190:191], v[200:201], v[56:57]
	v_fma_f64 v[38:39], v[26:27], v[196:197], -v[58:59]
	v_fma_f64 v[40:41], v[136:137], -0.5, v[40:41]
	v_fma_f64 v[26:27], v[194:195], v[196:197], v[60:61]
	v_add_f64 v[56:57], v[138:139], v[46:47]
	v_add_f64 v[60:61], v[86:87], -v[42:43]
	v_add_f64 v[138:139], v[64:65], -v[46:47]
	v_fma_f64 v[44:45], v[50:51], s[14:15], v[44:45]
	v_add_f64 v[146:147], v[42:43], -v[86:87]
	v_add_f64 v[148:149], v[46:47], -v[64:65]
	v_add_f64 v[150:151], v[62:63], v[206:207]
	v_fma_f64 v[58:59], v[142:143], s[4:5], v[140:141]
	v_add_f64 v[136:137], v[90:91], v[96:97]
	v_fma_f64 v[140:141], v[142:143], s[14:15], v[40:41]
	v_fma_f64 v[40:41], v[142:143], s[6:7], v[40:41]
	v_add_f64 v[60:61], v[60:61], v[138:139]
	v_fma_f64 v[138:139], v[142:143], s[16:17], v[44:45]
	v_add_f64 v[142:143], v[146:147], v[148:149]
	v_add_f64 v[146:147], v[206:207], v[128:129]
	;; [unrolled: 1-line block ×3, first 2 shown]
	v_fma_f64 v[136:137], v[136:137], -0.5, v[62:63]
	v_add_f64 v[86:87], v[86:87], -v[64:65]
	v_fma_f64 v[140:141], v[50:51], s[4:5], v[140:141]
	v_fma_f64 v[50:51], v[50:51], s[16:17], v[40:41]
	v_add_f64 v[152:153], v[42:43], -v[46:47]
	v_add_f64 v[42:43], v[56:57], v[64:65]
	v_fma_f64 v[44:45], v[60:61], s[8:9], v[58:59]
	v_fma_f64 v[40:41], v[60:61], s[8:9], v[138:139]
	v_fma_f64 v[56:57], v[146:147], -0.5, v[62:63]
	v_add_f64 v[58:59], v[148:149], v[96:97]
	v_add_f64 v[62:63], v[206:207], -v[90:91]
	v_add_f64 v[64:65], v[208:209], v[216:217]
	v_add_f64 v[138:139], v[128:129], -v[96:97]
	v_add_f64 v[90:91], v[90:91], -v[206:207]
	;; [unrolled: 1-line block ×3, first 2 shown]
	v_fma_f64 v[150:151], v[86:87], s[14:15], v[136:137]
	v_fma_f64 v[46:47], v[142:143], s[8:9], v[140:141]
	;; [unrolled: 1-line block ×6, first 2 shown]
	v_add_f64 v[142:143], v[12:13], v[103:104]
	v_fma_f64 v[146:147], v[64:65], -0.5, v[12:13]
	v_add_f64 v[148:149], v[132:133], -v[130:131]
	v_add_f64 v[90:91], v[90:91], v[96:97]
	v_add_f64 v[96:97], v[103:104], v[218:219]
	v_fma_f64 v[60:61], v[152:153], s[16:17], v[150:151]
	v_add_f64 v[62:63], v[62:63], v[138:139]
	v_fma_f64 v[64:65], v[152:153], s[4:5], v[136:137]
	v_fma_f64 v[136:137], v[86:87], s[16:17], v[140:141]
	;; [unrolled: 1-line block ×3, first 2 shown]
	v_add_f64 v[138:139], v[142:143], v[208:209]
	v_fma_f64 v[140:141], v[148:149], s[6:7], v[146:147]
	v_add_f64 v[142:143], v[92:93], -v[98:99]
	v_add_f64 v[58:59], v[58:59], v[128:129]
	v_fma_f64 v[12:13], v[96:97], -0.5, v[12:13]
	v_add_f64 v[128:129], v[92:93], v[98:99]
	v_fma_f64 v[60:61], v[62:63], s[8:9], v[60:61]
	v_fma_f64 v[56:57], v[62:63], s[8:9], v[64:65]
	;; [unrolled: 1-line block ×4, first 2 shown]
	v_add_f64 v[86:87], v[138:139], v[216:217]
	v_fma_f64 v[90:91], v[142:143], s[4:5], v[140:141]
	v_add_f64 v[96:97], v[103:104], -v[208:209]
	v_add_f64 v[136:137], v[218:219], -v[216:217]
	v_fma_f64 v[138:139], v[148:149], s[14:15], v[146:147]
	v_fma_f64 v[140:141], v[142:143], s[14:15], v[12:13]
	v_add_f64 v[146:147], v[208:209], -v[103:104]
	v_add_f64 v[150:151], v[216:217], -v[218:219]
	v_fma_f64 v[12:13], v[142:143], s[6:7], v[12:13]
	v_add_f64 v[152:153], v[20:21], v[132:133]
	v_fma_f64 v[128:129], v[128:129], -0.5, v[20:21]
	v_add_f64 v[103:104], v[103:104], -v[218:219]
	v_add_f64 v[96:97], v[96:97], v[136:137]
	v_fma_f64 v[136:137], v[142:143], s[16:17], v[138:139]
	v_fma_f64 v[138:139], v[148:149], s[4:5], v[140:141]
	v_add_f64 v[140:141], v[146:147], v[150:151]
	v_fma_f64 v[12:13], v[148:149], s[16:17], v[12:13]
	v_add_f64 v[142:143], v[132:133], v[130:131]
	v_add_f64 v[146:147], v[152:153], v[92:93]
	v_fma_f64 v[148:149], v[103:104], s[14:15], v[128:129]
	v_add_f64 v[150:151], v[208:209], -v[216:217]
	v_fma_f64 v[90:91], v[96:97], s[8:9], v[90:91]
	v_fma_f64 v[96:97], v[96:97], s[8:9], v[136:137]
	;; [unrolled: 1-line block ×4, first 2 shown]
	v_fma_f64 v[20:21], v[142:143], -0.5, v[20:21]
	v_add_f64 v[138:139], v[146:147], v[98:99]
	v_add_f64 v[142:143], v[132:133], -v[92:93]
	v_fma_f64 v[140:141], v[150:151], s[16:17], v[148:149]
	v_add_f64 v[146:147], v[107:108], v[111:112]
	v_add_f64 v[148:149], v[130:131], -v[98:99]
	v_add_f64 v[92:93], v[92:93], -v[132:133]
	;; [unrolled: 1-line block ×3, first 2 shown]
	v_fma_f64 v[128:129], v[103:104], s[6:7], v[128:129]
	v_fma_f64 v[152:153], v[150:151], s[6:7], v[20:21]
	;; [unrolled: 1-line block ×3, first 2 shown]
	v_add_f64 v[132:133], v[14:15], v[204:205]
	v_fma_f64 v[146:147], v[146:147], -0.5, v[14:15]
	v_add_f64 v[154:155], v[83:84], -v[156:157]
	v_add_f64 v[142:143], v[142:143], v[148:149]
	v_add_f64 v[92:93], v[92:93], v[98:99]
	v_add_f64 v[98:99], v[204:205], v[115:116]
	v_fma_f64 v[128:129], v[150:151], s[4:5], v[128:129]
	v_fma_f64 v[148:149], v[103:104], s[16:17], v[152:153]
	;; [unrolled: 1-line block ×3, first 2 shown]
	v_add_f64 v[103:104], v[132:133], v[107:108]
	v_fma_f64 v[132:133], v[154:155], s[6:7], v[146:147]
	v_add_f64 v[150:151], v[144:145], -v[73:74]
	v_add_f64 v[130:131], v[138:139], v[130:131]
	v_fma_f64 v[14:15], v[98:99], -0.5, v[14:15]
	v_fma_f64 v[138:139], v[142:143], s[8:9], v[140:141]
	v_fma_f64 v[128:129], v[142:143], s[8:9], v[128:129]
	;; [unrolled: 1-line block ×4, first 2 shown]
	v_add_f64 v[20:21], v[103:104], v[111:112]
	v_fma_f64 v[92:93], v[150:151], s[4:5], v[132:133]
	v_add_f64 v[103:104], v[204:205], -v[107:108]
	v_add_f64 v[132:133], v[144:145], v[73:74]
	v_add_f64 v[142:143], v[115:116], -v[111:112]
	v_fma_f64 v[146:147], v[154:155], s[14:15], v[146:147]
	v_fma_f64 v[148:149], v[150:151], s[14:15], v[14:15]
	v_add_f64 v[152:153], v[107:108], -v[204:205]
	v_add_f64 v[158:159], v[111:112], -v[115:116]
	v_fma_f64 v[14:15], v[150:151], s[6:7], v[14:15]
	v_add_f64 v[160:161], v[22:23], v[83:84]
	v_fma_f64 v[132:133], v[132:133], -0.5, v[22:23]
	v_add_f64 v[162:163], v[204:205], -v[115:116]
	v_add_f64 v[103:104], v[103:104], v[142:143]
	v_fma_f64 v[142:143], v[150:151], s[16:17], v[146:147]
	v_fma_f64 v[146:147], v[154:155], s[4:5], v[148:149]
	v_add_f64 v[148:149], v[152:153], v[158:159]
	v_fma_f64 v[14:15], v[154:155], s[16:17], v[14:15]
	v_add_f64 v[150:151], v[83:84], v[156:157]
	v_add_f64 v[152:153], v[160:161], v[144:145]
	v_fma_f64 v[154:155], v[162:163], s[14:15], v[132:133]
	v_add_f64 v[107:108], v[107:108], -v[111:112]
	v_add_f64 v[20:21], v[20:21], v[115:116]
	v_fma_f64 v[92:93], v[103:104], s[8:9], v[92:93]
	v_fma_f64 v[111:112], v[148:149], s[8:9], v[146:147]
	v_fma_f64 v[14:15], v[148:149], s[8:9], v[14:15]
	v_fma_f64 v[22:23], v[150:151], -0.5, v[22:23]
	v_add_f64 v[115:116], v[152:153], v[73:74]
	v_add_f64 v[146:147], v[83:84], -v[144:145]
	v_add_f64 v[148:149], v[109:110], v[77:78]
	v_add_f64 v[150:151], v[156:157], -v[73:74]
	v_add_f64 v[83:84], v[144:145], -v[83:84]
	;; [unrolled: 1-line block ×3, first 2 shown]
	v_add_f64 v[144:145], v[4:5], v[105:106]
	v_fma_f64 v[103:104], v[103:104], s[8:9], v[142:143]
	v_fma_f64 v[142:143], v[107:108], s[16:17], v[154:155]
	;; [unrolled: 1-line block ×5, first 2 shown]
	v_fma_f64 v[148:149], v[148:149], -0.5, v[4:5]
	v_add_f64 v[154:155], v[134:135], -v[79:80]
	v_add_f64 v[73:74], v[83:84], v[73:74]
	v_add_f64 v[83:84], v[144:145], v[109:110]
	;; [unrolled: 1-line block ×4, first 2 shown]
	v_fma_f64 v[107:108], v[107:108], s[4:5], v[132:133]
	v_fma_f64 v[132:133], v[162:163], s[16:17], v[152:153]
	;; [unrolled: 1-line block ×4, first 2 shown]
	v_add_f64 v[152:153], v[71:72], -v[75:76]
	v_fma_f64 v[148:149], v[154:155], s[14:15], v[148:149]
	v_fma_f64 v[4:5], v[144:145], -0.5, v[4:5]
	v_fma_f64 v[142:143], v[146:147], s[8:9], v[142:143]
	v_fma_f64 v[107:108], v[146:147], s[8:9], v[107:108]
	;; [unrolled: 1-line block ×4, first 2 shown]
	v_add_f64 v[22:23], v[83:84], v[77:78]
	v_fma_f64 v[83:84], v[152:153], s[4:5], v[150:151]
	v_add_f64 v[146:147], v[16:17], v[134:135]
	v_add_f64 v[150:151], v[71:72], v[75:76]
	v_fma_f64 v[158:159], v[152:153], s[14:15], v[4:5]
	v_fma_f64 v[4:5], v[152:153], s[6:7], v[4:5]
	v_add_f64 v[115:116], v[115:116], v[156:157]
	v_add_f64 v[144:145], v[105:106], -v[109:110]
	v_add_f64 v[156:157], v[81:82], -v[77:78]
	;; [unrolled: 1-line block ×4, first 2 shown]
	v_add_f64 v[146:147], v[146:147], v[71:72]
	v_fma_f64 v[150:151], v[150:151], -0.5, v[16:17]
	v_add_f64 v[105:106], v[105:106], -v[81:82]
	v_fma_f64 v[148:149], v[152:153], s[16:17], v[148:149]
	v_fma_f64 v[152:153], v[154:155], s[4:5], v[158:159]
	;; [unrolled: 1-line block ×3, first 2 shown]
	v_add_f64 v[154:155], v[134:135], v[79:80]
	v_add_f64 v[144:145], v[144:145], v[156:157]
	;; [unrolled: 1-line block ×4, first 2 shown]
	v_fma_f64 v[158:159], v[105:106], s[14:15], v[150:151]
	v_add_f64 v[77:78], v[109:110], -v[77:78]
	v_add_f64 v[22:23], v[22:23], v[81:82]
	v_fma_f64 v[150:151], v[105:106], s[6:7], v[150:151]
	v_fma_f64 v[16:17], v[154:155], -0.5, v[16:17]
	v_add_f64 v[154:155], v[6:7], v[52:53]
	v_fma_f64 v[81:82], v[144:145], s[8:9], v[83:84]
	v_fma_f64 v[83:84], v[144:145], s[8:9], v[148:149]
	;; [unrolled: 1-line block ×4, first 2 shown]
	v_add_f64 v[144:145], v[146:147], v[79:80]
	v_fma_f64 v[146:147], v[77:78], s[16:17], v[158:159]
	v_add_f64 v[148:149], v[134:135], -v[71:72]
	v_add_f64 v[152:153], v[79:80], -v[75:76]
	v_add_f64 v[156:157], v[48:49], v[113:114]
	v_fma_f64 v[158:159], v[77:78], s[6:7], v[16:17]
	v_add_f64 v[71:72], v[71:72], -v[134:135]
	v_add_f64 v[75:76], v[75:76], -v[79:80]
	v_fma_f64 v[16:17], v[77:78], s[14:15], v[16:17]
	v_add_f64 v[134:135], v[154:155], v[48:49]
	v_fma_f64 v[77:78], v[77:78], s[4:5], v[150:151]
	v_add_f64 v[79:80], v[148:149], v[152:153]
	v_fma_f64 v[148:149], v[156:157], -0.5, v[6:7]
	v_add_f64 v[150:151], v[32:33], -v[66:67]
	v_fma_f64 v[152:153], v[105:106], s[16:17], v[158:159]
	v_add_f64 v[71:72], v[71:72], v[75:76]
	v_fma_f64 v[16:17], v[105:106], s[4:5], v[16:17]
	v_add_f64 v[75:76], v[52:53], v[117:118]
	v_add_f64 v[105:106], v[134:135], v[113:114]
	v_fma_f64 v[134:135], v[79:80], s[8:9], v[146:147]
	v_fma_f64 v[77:78], v[79:80], s[8:9], v[77:78]
	;; [unrolled: 1-line block ×3, first 2 shown]
	v_add_f64 v[146:147], v[36:37], -v[54:55]
	v_fma_f64 v[152:153], v[71:72], s[8:9], v[152:153]
	v_fma_f64 v[71:72], v[71:72], s[8:9], v[16:17]
	v_fma_f64 v[6:7], v[75:76], -0.5, v[6:7]
	v_add_f64 v[16:17], v[105:106], v[117:118]
	v_add_f64 v[75:76], v[52:53], -v[48:49]
	v_add_f64 v[105:106], v[117:118], -v[113:114]
	v_fma_f64 v[148:149], v[150:151], s[14:15], v[148:149]
	v_add_f64 v[154:155], v[18:19], v[32:33]
	v_fma_f64 v[79:80], v[146:147], s[4:5], v[79:80]
	v_add_f64 v[156:157], v[36:37], v[54:55]
	v_fma_f64 v[158:159], v[146:147], s[14:15], v[6:7]
	v_add_f64 v[160:161], v[48:49], -v[52:53]
	v_add_f64 v[162:163], v[113:114], -v[117:118]
	v_add_f64 v[75:76], v[75:76], v[105:106]
	v_fma_f64 v[105:106], v[146:147], s[16:17], v[148:149]
	v_fma_f64 v[6:7], v[146:147], s[6:7], v[6:7]
	v_add_f64 v[146:147], v[154:155], v[36:37]
	v_fma_f64 v[148:149], v[156:157], -0.5, v[18:19]
	v_add_f64 v[52:53], v[52:53], -v[117:118]
	v_fma_f64 v[117:118], v[150:151], s[4:5], v[158:159]
	v_add_f64 v[154:155], v[160:161], v[162:163]
	v_fma_f64 v[79:80], v[75:76], s[8:9], v[79:80]
	v_fma_f64 v[75:76], v[75:76], s[8:9], v[105:106]
	;; [unrolled: 1-line block ×3, first 2 shown]
	v_add_f64 v[105:106], v[146:147], v[54:55]
	v_add_f64 v[146:147], v[32:33], v[66:67]
	v_fma_f64 v[150:151], v[52:53], s[14:15], v[148:149]
	v_add_f64 v[48:49], v[48:49], -v[113:114]
	v_fma_f64 v[113:114], v[154:155], s[8:9], v[117:118]
	v_add_f64 v[117:118], v[10:11], v[30:31]
	v_add_f64 v[156:157], v[32:33], -v[36:37]
	v_add_f64 v[158:159], v[66:67], -v[54:55]
	v_fma_f64 v[6:7], v[154:155], s[8:9], v[6:7]
	v_fma_f64 v[18:19], v[146:147], -0.5, v[18:19]
	v_add_f64 v[154:155], v[2:3], -v[26:27]
	v_fma_f64 v[146:147], v[48:49], s[16:17], v[150:151]
	v_add_f64 v[150:151], v[0:1], v[24:25]
	v_fma_f64 v[117:118], v[117:118], -0.5, v[0:1]
	v_fma_f64 v[148:149], v[52:53], s[6:7], v[148:149]
	v_add_f64 v[156:157], v[156:157], v[158:159]
	v_add_f64 v[32:33], v[36:37], -v[32:33]
	v_fma_f64 v[158:159], v[48:49], s[6:7], v[18:19]
	v_add_f64 v[36:37], v[54:55], -v[66:67]
	v_fma_f64 v[18:19], v[48:49], s[14:15], v[18:19]
	v_add_f64 v[105:106], v[105:106], v[66:67]
	v_add_f64 v[54:55], v[150:151], v[10:11]
	v_fma_f64 v[66:67], v[154:155], s[6:7], v[117:118]
	v_add_f64 v[150:151], v[34:35], -v[28:29]
	v_add_f64 v[160:161], v[24:25], -v[10:11]
	;; [unrolled: 1-line block ×3, first 2 shown]
	v_fma_f64 v[48:49], v[48:49], s[4:5], v[148:149]
	v_add_f64 v[148:149], v[24:25], v[38:39]
	v_fma_f64 v[158:159], v[52:53], s[16:17], v[158:159]
	v_add_f64 v[32:33], v[32:33], v[36:37]
	;; [unrolled: 2-line block ×4, first 2 shown]
	v_fma_f64 v[66:67], v[156:157], s[8:9], v[146:147]
	v_fma_f64 v[0:1], v[148:149], -0.5, v[0:1]
	v_fma_f64 v[146:147], v[156:157], s[8:9], v[48:49]
	v_fma_f64 v[148:149], v[32:33], s[8:9], v[158:159]
	;; [unrolled: 1-line block ×3, first 2 shown]
	v_add_f64 v[32:33], v[34:35], v[28:29]
	v_add_f64 v[158:159], v[2:3], v[26:27]
	;; [unrolled: 1-line block ×3, first 2 shown]
	v_fma_f64 v[36:37], v[54:55], s[8:9], v[52:53]
	v_fma_f64 v[48:49], v[154:155], s[14:15], v[117:118]
	;; [unrolled: 1-line block ×3, first 2 shown]
	v_add_f64 v[117:118], v[10:11], -v[24:25]
	v_add_f64 v[160:161], v[30:31], -v[38:39]
	v_add_f64 v[162:163], v[8:9], v[2:3]
	v_fma_f64 v[32:33], v[32:33], -0.5, v[8:9]
	v_add_f64 v[24:25], v[24:25], -v[38:39]
	v_add_f64 v[10:11], v[10:11], -v[30:31]
	v_fma_f64 v[8:9], v[158:159], -0.5, v[8:9]
	v_fma_f64 v[0:1], v[150:151], s[6:7], v[0:1]
	v_fma_f64 v[38:39], v[150:151], s[16:17], v[48:49]
	;; [unrolled: 1-line block ×3, first 2 shown]
	v_add_f64 v[30:31], v[117:118], v[160:161]
	v_add_f64 v[52:53], v[162:163], v[34:35]
	v_fma_f64 v[117:118], v[24:25], s[14:15], v[32:33]
	v_add_f64 v[150:151], v[2:3], -v[34:35]
	v_add_f64 v[158:159], v[26:27], -v[28:29]
	v_fma_f64 v[32:33], v[24:25], s[6:7], v[32:33]
	v_fma_f64 v[160:161], v[10:11], s[6:7], v[8:9]
	v_add_f64 v[2:3], v[34:35], -v[2:3]
	v_add_f64 v[34:35], v[28:29], -v[26:27]
	v_fma_f64 v[8:9], v[10:11], s[14:15], v[8:9]
	v_fma_f64 v[0:1], v[154:155], s[16:17], v[0:1]
	v_add_f64 v[86:87], v[86:87], v[218:219]
	v_add_f64 v[28:29], v[52:53], v[28:29]
	v_fma_f64 v[52:53], v[10:11], s[16:17], v[117:118]
	v_add_f64 v[117:118], v[150:151], v[158:159]
	v_fma_f64 v[10:11], v[10:11], s[4:5], v[32:33]
	v_fma_f64 v[32:33], v[24:25], s[16:17], v[160:161]
	v_add_f64 v[2:3], v[2:3], v[34:35]
	v_fma_f64 v[8:9], v[24:25], s[4:5], v[8:9]
	v_fma_f64 v[34:35], v[30:31], s[8:9], v[48:49]
	;; [unrolled: 1-line block ×4, first 2 shown]
	v_lshl_add_u32 v88, v127, 3, v68
	v_lshl_add_u32 v68, v70, 3, v68
	v_add_f64 v[150:151], v[28:29], v[26:27]
	v_fma_f64 v[154:155], v[117:118], s[8:9], v[52:53]
	v_fma_f64 v[117:118], v[117:118], s[8:9], v[10:11]
	;; [unrolled: 1-line block ×4, first 2 shown]
	s_waitcnt lgkmcnt(0)
	; wave barrier
	ds_write2_b64 v100, v[42:43], v[86:87] offset1:5
	ds_write2_b64 v100, v[44:45], v[90:91] offset0:10 offset1:15
	ds_write2_b64 v100, v[46:47], v[136:137] offset0:20 offset1:25
	;; [unrolled: 1-line block ×4, first 2 shown]
	ds_write_b64 v100, v[20:21] offset:400
	ds_write_b64 v100, v[92:93] offset:480
	;; [unrolled: 1-line block ×3, first 2 shown]
	ds_write_b64 v88, v[14:15]
	ds_write_b64 v100, v[22:23] offset:440
	ds_write_b64 v100, v[81:82] offset:520
	ds_write2_b64 v100, v[109:110], v[4:5] offset0:75 offset1:85
	ds_write2_b64 v100, v[103:104], v[83:84] offset0:90 offset1:95
	;; [unrolled: 1-line block ×4, first 2 shown]
	ds_write_b64 v69, v[75:76] offset:1120
	ds_write2_b64 v68, v[18:19], v[36:37] offset0:100 offset1:110
	ds_write2_b64 v68, v[34:35], v[0:1] offset0:120 offset1:130
	ds_write_b64 v68, v[24:25] offset:1120
	s_waitcnt lgkmcnt(0)
	; wave barrier
	s_waitcnt lgkmcnt(0)
	ds_read2_b64 v[4:7], v100 offset0:50 offset1:55
	ds_read2_b64 v[8:11], v100 offset0:100 offset1:105
	;; [unrolled: 1-line block ×12, first 2 shown]
	ds_read_b64 v[86:87], v101
	ds_read_b64 v[92:93], v102
	ds_read2_b64 v[36:39], v100 offset0:90 offset1:95
	ds_read2_b64 v[52:55], v100 offset0:140 offset1:145
	s_waitcnt lgkmcnt(0)
	; wave barrier
	s_waitcnt lgkmcnt(0)
	ds_write2_b64 v100, v[58:59], v[130:131] offset1:5
	ds_write2_b64 v100, v[60:61], v[138:139] offset0:10 offset1:15
	ds_write2_b64 v100, v[62:63], v[140:141] offset0:20 offset1:25
	;; [unrolled: 1-line block ×4, first 2 shown]
	ds_write_b64 v100, v[115:116] offset:400
	ds_write_b64 v100, v[142:143] offset:480
	;; [unrolled: 1-line block ×3, first 2 shown]
	ds_write_b64 v88, v[73:74]
	ds_write_b64 v100, v[144:145] offset:440
	ds_write_b64 v100, v[134:135] offset:520
	ds_write2_b64 v100, v[152:153], v[71:72] offset0:75 offset1:85
	ds_write2_b64 v100, v[107:108], v[77:78] offset0:90 offset1:95
	;; [unrolled: 1-line block ×4, first 2 shown]
	ds_write_b64 v69, v[146:147] offset:1120
	ds_write2_b64 v68, v[150:151], v[154:155] offset0:100 offset1:110
	ds_write2_b64 v68, v[158:159], v[160:161] offset0:120 offset1:130
	ds_write_b64 v68, v[117:118] offset:1120
	s_waitcnt lgkmcnt(0)
	; wave barrier
	s_waitcnt lgkmcnt(0)
	s_and_saveexec_b64 s[0:1], vcc
	s_cbranch_execz .LBB0_14
; %bb.13:
	v_lshlrev_b32_e32 v88, 1, v125
	v_add_u32_e32 v84, 0x5a, v88
	v_lshlrev_b64 v[56:57], 4, v[84:85]
	v_mov_b32_e32 v96, s13
	v_add_co_u32_e32 v64, vcc, s12, v56
	v_addc_co_u32_e32 v65, vcc, v96, v57, vcc
	v_lshlrev_b32_e32 v84, 1, v126
	global_load_dwordx4 v[56:59], v[64:65], off offset:656
	global_load_dwordx4 v[60:63], v[64:65], off offset:640
	v_lshlrev_b64 v[64:65], 4, v[84:85]
	v_add_u32_e32 v84, 0x46, v88
	v_add_co_u32_e32 v72, vcc, s12, v64
	v_addc_co_u32_e32 v73, vcc, v96, v65, vcc
	global_load_dwordx4 v[64:67], v[72:73], off offset:656
	global_load_dwordx4 v[68:71], v[72:73], off offset:640
	v_lshlrev_b64 v[72:73], 4, v[84:85]
	v_add_u32_e32 v84, 60, v88
	v_add_co_u32_e32 v72, vcc, s12, v72
	v_addc_co_u32_e32 v73, vcc, v96, v73, vcc
	global_load_dwordx4 v[103:106], v[72:73], off offset:640
	global_load_dwordx4 v[107:110], v[72:73], off offset:656
	v_lshlrev_b64 v[97:98], 4, v[84:85]
	ds_read2_b64 v[111:114], v100 offset0:90 offset1:95
	ds_read2_b64 v[115:118], v100 offset0:140 offset1:145
	;; [unrolled: 1-line block ×3, first 2 shown]
	v_add_co_u32_e32 v97, vcc, s12, v97
	v_addc_co_u32_e32 v98, vcc, v96, v98, vcc
	ds_read2_b64 v[76:79], v100 offset0:80 offset1:85
	ds_read2_b64 v[80:83], v100 offset0:130 offset1:135
	global_load_dwordx4 v[126:129], v[97:98], off offset:656
	global_load_dwordx4 v[130:133], v[97:98], off offset:640
	v_lshlrev_b32_e32 v84, 1, v95
	v_mul_lo_u32 v99, s3, v122
	v_mul_lo_u32 v119, s2, v123
	v_mad_u64_u32 v[90:91], s[0:1], s2, v122, 0
	ds_read_b64 v[97:98], v102
	ds_read_b64 v[122:123], v101
	v_lshlrev_b64 v[101:102], 4, v[84:85]
	v_lshlrev_b32_e32 v84, 1, v94
	v_add_co_u32_e32 v101, vcc, s12, v101
	v_addc_co_u32_e32 v102, vcc, v96, v102, vcc
	global_load_dwordx4 v[134:137], v[101:102], off offset:656
	global_load_dwordx4 v[138:141], v[101:102], off offset:640
	v_lshlrev_b64 v[94:95], 4, v[84:85]
	s_mov_b32 s0, 0xe8584caa
	v_add_co_u32_e32 v94, vcc, s12, v94
	v_addc_co_u32_e32 v95, vcc, v96, v95, vcc
	global_load_dwordx4 v[142:145], v[94:95], off offset:656
	global_load_dwordx4 v[146:149], v[94:95], off offset:640
	s_mov_b32 s1, 0x3febb67a
	s_mov_b32 s3, 0xbfebb67a
	;; [unrolled: 1-line block ×3, first 2 shown]
	v_add_u32_e32 v84, 30, v88
	v_add3_u32 v91, v91, v119, v99
	s_mov_b32 s4, 0x51eb851f
	s_waitcnt vmcnt(11) lgkmcnt(5)
	v_mul_f64 v[101:102], v[117:118], v[58:59]
	s_waitcnt vmcnt(10)
	v_mul_f64 v[94:95], v[113:114], v[62:63]
	v_mul_f64 v[62:63], v[38:39], v[62:63]
	;; [unrolled: 1-line block ×3, first 2 shown]
	s_waitcnt vmcnt(9)
	v_mul_f64 v[152:153], v[115:116], v[66:67]
	s_waitcnt vmcnt(8)
	v_mul_f64 v[150:151], v[111:112], v[70:71]
	v_mul_f64 v[70:71], v[36:37], v[70:71]
	;; [unrolled: 1-line block ×3, first 2 shown]
	v_fma_f64 v[38:39], v[38:39], v[60:61], -v[94:95]
	v_fma_f64 v[54:55], v[54:55], v[56:57], -v[101:102]
	v_fma_f64 v[60:61], v[60:61], v[113:114], v[62:63]
	s_waitcnt vmcnt(7) lgkmcnt(3)
	v_mul_f64 v[154:155], v[78:79], v[105:106]
	s_waitcnt vmcnt(6) lgkmcnt(2)
	v_mul_f64 v[156:157], v[82:83], v[109:110]
	v_mul_f64 v[105:106], v[42:43], v[105:106]
	;; [unrolled: 1-line block ×3, first 2 shown]
	v_fma_f64 v[56:57], v[56:57], v[117:118], v[58:59]
	v_fma_f64 v[36:37], v[36:37], v[68:69], -v[150:151]
	v_fma_f64 v[94:95], v[52:53], v[64:65], -v[152:153]
	v_fma_f64 v[52:53], v[68:69], v[111:112], v[70:71]
	v_fma_f64 v[58:59], v[64:65], v[115:116], v[66:67]
	v_fma_f64 v[70:71], v[42:43], v[103:104], -v[154:155]
	v_fma_f64 v[78:79], v[103:104], v[78:79], v[105:106]
	v_fma_f64 v[82:83], v[107:108], v[82:83], v[109:110]
	v_fma_f64 v[111:112], v[46:47], v[107:108], -v[156:157]
	v_add_f64 v[46:47], v[60:61], v[56:57]
	v_add_f64 v[66:67], v[36:37], -v[94:95]
	v_add_f64 v[103:104], v[36:37], v[94:95]
	v_add_f64 v[107:108], v[92:93], v[36:37]
	;; [unrolled: 1-line block ×6, first 2 shown]
	v_add_f64 v[42:43], v[38:39], -v[54:55]
	v_add_f64 v[38:39], v[50:51], v[38:39]
	v_add_f64 v[109:110], v[70:71], -v[111:112]
	v_fma_f64 v[46:47], v[46:47], -0.5, v[74:75]
	v_fma_f64 v[74:75], v[103:104], -0.5, v[92:93]
	v_add_f64 v[60:61], v[60:61], -v[56:57]
	v_fma_f64 v[92:93], v[36:37], -0.5, v[72:73]
	s_waitcnt lgkmcnt(1)
	v_add_f64 v[101:102], v[52:53], v[97:98]
	v_add_f64 v[56:57], v[56:57], v[62:63]
	v_fma_f64 v[50:51], v[64:65], -0.5, v[50:51]
	v_fma_f64 v[62:63], v[68:69], -0.5, v[97:98]
	v_add_f64 v[105:106], v[52:53], -v[58:59]
	v_add_f64 v[54:55], v[38:39], v[54:55]
	v_fma_f64 v[38:39], v[42:43], s[0:1], v[46:47]
	v_fma_f64 v[52:53], v[42:43], s[2:3], v[46:47]
	v_add_f64 v[72:73], v[78:79], v[72:73]
	v_fma_f64 v[42:43], v[109:110], s[0:1], v[92:93]
	v_fma_f64 v[46:47], v[109:110], s[2:3], v[92:93]
	s_waitcnt vmcnt(4)
	v_mul_f64 v[92:93], v[76:77], v[132:133]
	v_add_f64 v[68:69], v[58:59], v[101:102]
	v_fma_f64 v[36:37], v[60:61], s[2:3], v[50:51]
	v_fma_f64 v[50:51], v[60:61], s[0:1], v[50:51]
	;; [unrolled: 1-line block ×4, first 2 shown]
	v_add_f64 v[66:67], v[107:108], v[94:95]
	v_mul_f64 v[94:95], v[80:81], v[128:129]
	v_mul_f64 v[97:98], v[40:41], v[132:133]
	;; [unrolled: 1-line block ×3, first 2 shown]
	v_add_f64 v[72:73], v[82:83], v[72:73]
	v_add_f64 v[78:79], v[78:79], -v[82:83]
	v_fma_f64 v[82:83], v[40:41], v[130:131], -v[92:93]
	v_lshlrev_b64 v[40:41], 4, v[84:85]
	v_fma_f64 v[58:59], v[105:106], s[2:3], v[74:75]
	v_add_co_u32_e32 v40, vcc, s12, v40
	v_fma_f64 v[62:63], v[105:106], s[0:1], v[74:75]
	v_add_f64 v[74:75], v[70:71], v[111:112]
	v_addc_co_u32_e32 v41, vcc, v96, v41, vcc
	v_fma_f64 v[150:151], v[44:45], v[126:127], -v[94:95]
	v_fma_f64 v[76:77], v[130:131], v[76:77], v[97:98]
	v_fma_f64 v[97:98], v[126:127], v[80:81], v[101:102]
	global_load_dwordx4 v[92:95], v[40:41], off offset:656
	global_load_dwordx4 v[101:104], v[40:41], off offset:640
	v_add_u32_e32 v84, 20, v88
	v_fma_f64 v[74:75], v[74:75], -0.5, v[48:49]
	v_add_f64 v[48:49], v[48:49], v[70:71]
	v_lshlrev_b64 v[126:127], 4, v[84:85]
	ds_read2_b64 v[105:108], v100 offset0:25 offset1:30
	v_add_co_u32_e32 v130, vcc, s12, v126
	v_add_f64 v[80:81], v[76:77], v[97:98]
	v_addc_co_u32_e32 v131, vcc, v96, v127, vcc
	v_add_f64 v[70:71], v[48:49], v[111:112]
	ds_read2_b64 v[109:112], v100 offset0:70 offset1:75
	ds_read2_b64 v[113:116], v100 offset0:120 offset1:125
	global_load_dwordx4 v[126:129], v[130:131], off offset:656
	s_nop 0
	global_load_dwordx4 v[130:133], v[130:131], off offset:640
	v_fma_f64 v[40:41], v[78:79], s[2:3], v[74:75]
	v_fma_f64 v[44:45], v[78:79], s[0:1], v[74:75]
	s_waitcnt lgkmcnt(2)
	v_fma_f64 v[74:75], v[80:81], -0.5, v[107:108]
	v_add_f64 v[78:79], v[82:83], v[150:151]
	s_waitcnt vmcnt(6) lgkmcnt(1)
	v_mul_f64 v[80:81], v[111:112], v[140:141]
	s_waitcnt lgkmcnt(0)
	v_mul_f64 v[117:118], v[115:116], v[136:137]
	v_mul_f64 v[140:141], v[30:31], v[140:141]
	;; [unrolled: 1-line block ×3, first 2 shown]
	v_add_f64 v[48:49], v[82:83], -v[150:151]
	v_add_f64 v[107:108], v[76:77], v[107:108]
	v_lshlrev_b32_e32 v84, 1, v89
	v_fma_f64 v[78:79], v[78:79], -0.5, v[34:35]
	v_add_f64 v[34:35], v[34:35], v[82:83]
	v_fma_f64 v[82:83], v[26:27], v[134:135], -v[117:118]
	v_fma_f64 v[26:27], v[138:139], v[111:112], v[140:141]
	v_fma_f64 v[111:112], v[134:135], v[115:116], v[136:137]
	v_fma_f64 v[30:31], v[30:31], v[138:139], -v[80:81]
	v_add_f64 v[152:153], v[76:77], -v[97:98]
	v_fma_f64 v[76:77], v[48:49], s[0:1], v[74:75]
	v_fma_f64 v[80:81], v[48:49], s[2:3], v[74:75]
	v_lshlrev_b64 v[134:135], 4, v[84:85]
	v_add_f64 v[117:118], v[97:98], v[107:108]
	v_add_co_u32_e32 v138, vcc, s12, v134
	v_add_f64 v[48:49], v[26:27], v[111:112]
	v_addc_co_u32_e32 v139, vcc, v96, v135, vcc
	v_add_f64 v[97:98], v[30:31], v[82:83]
	s_waitcnt vmcnt(4)
	v_mul_f64 v[107:108], v[109:110], v[148:149]
	global_load_dwordx4 v[134:137], v[138:139], off offset:656
	s_nop 0
	global_load_dwordx4 v[138:141], v[138:139], off offset:640
	v_mov_b32_e32 v89, v85
	v_fma_f64 v[74:75], v[152:153], s[2:3], v[78:79]
	v_fma_f64 v[78:79], v[152:153], s[0:1], v[78:79]
	v_fma_f64 v[48:49], v[48:49], -0.5, v[105:106]
	v_add_f64 v[105:106], v[26:27], v[105:106]
	v_add_f64 v[152:153], v[26:27], -v[111:112]
	v_lshlrev_b64 v[26:27], 4, v[88:89]
	v_add_f64 v[115:116], v[34:35], v[150:151]
	v_add_f64 v[34:35], v[30:31], -v[82:83]
	v_add_f64 v[154:155], v[32:33], v[30:31]
	v_add_co_u32_e32 v30, vcc, s12, v26
	v_addc_co_u32_e32 v31, vcc, v96, v27, vcc
	v_mul_f64 v[148:149], v[28:29], v[148:149]
	v_fma_f64 v[150:151], v[97:98], -0.5, v[32:33]
	v_fma_f64 v[156:157], v[28:29], v[146:147], -v[107:108]
	global_load_dwordx4 v[26:29], v[30:31], off offset:656
	s_nop 0
	global_load_dwordx4 v[30:33], v[30:31], off offset:640
	v_mul_f64 v[107:108], v[24:25], v[144:145]
	v_mul_f64 v[97:98], v[113:114], v[144:145]
	v_add_f64 v[111:112], v[111:112], v[105:106]
	v_mul_hi_u32 v84, v125, s4
	v_fma_f64 v[158:159], v[146:147], v[109:110], v[148:149]
	v_fma_f64 v[105:106], v[152:153], s[0:1], v[150:151]
	v_add_f64 v[109:110], v[154:155], v[82:83]
	v_fma_f64 v[88:89], v[142:143], v[113:114], v[107:108]
	v_fma_f64 v[113:114], v[24:25], v[142:143], -v[97:98]
	v_fma_f64 v[96:97], v[152:153], s[2:3], v[150:151]
	ds_read2_b64 v[142:145], v100 offset0:15 offset1:20
	ds_read2_b64 v[146:149], v100 offset0:60 offset1:65
	;; [unrolled: 1-line block ×3, first 2 shown]
	v_fma_f64 v[98:99], v[34:35], s[0:1], v[48:49]
	v_fma_f64 v[107:108], v[34:35], s[2:3], v[48:49]
	v_add_f64 v[24:25], v[158:159], v[88:89]
	v_add_f64 v[34:35], v[156:157], -v[113:114]
	v_add_f64 v[48:49], v[156:157], v[113:114]
	s_waitcnt vmcnt(6)
	v_mul_f64 v[82:83], v[14:15], v[103:104]
	v_mul_f64 v[154:155], v[18:19], v[94:95]
	s_waitcnt lgkmcnt(1)
	v_mul_f64 v[103:104], v[148:149], v[103:104]
	s_waitcnt lgkmcnt(0)
	v_mul_f64 v[162:163], v[152:153], v[94:95]
	v_fma_f64 v[160:161], v[24:25], -0.5, v[144:145]
	v_add_f64 v[144:145], v[158:159], v[144:145]
	v_fma_f64 v[48:49], v[48:49], -0.5, v[22:23]
	v_fma_f64 v[82:83], v[101:102], v[148:149], v[82:83]
	v_fma_f64 v[148:149], v[92:93], v[152:153], v[154:155]
	v_add_f64 v[152:153], v[158:159], -v[88:89]
	v_add_f64 v[154:155], v[22:23], v[156:157]
	v_fma_f64 v[156:157], v[18:19], v[92:93], -v[162:163]
	v_fma_f64 v[24:25], v[34:35], s[0:1], v[160:161]
	v_fma_f64 v[94:95], v[34:35], s[2:3], v[160:161]
	v_fma_f64 v[34:35], v[14:15], v[101:102], -v[103:104]
	v_add_f64 v[103:104], v[88:89], v[144:145]
	s_waitcnt vmcnt(4)
	v_mul_f64 v[18:19], v[12:13], v[132:133]
	v_fma_f64 v[22:23], v[152:153], s[2:3], v[48:49]
	v_fma_f64 v[92:93], v[152:153], s[0:1], v[48:49]
	v_mul_f64 v[48:49], v[16:17], v[128:129]
	v_mul_f64 v[132:133], v[146:147], v[132:133]
	;; [unrolled: 1-line block ×3, first 2 shown]
	v_add_f64 v[88:89], v[34:35], v[156:157]
	v_add_f64 v[14:15], v[82:83], v[148:149]
	;; [unrolled: 1-line block ×3, first 2 shown]
	v_fma_f64 v[152:153], v[130:131], v[146:147], v[18:19]
	v_add_f64 v[113:114], v[34:35], -v[156:157]
	v_fma_f64 v[48:49], v[126:127], v[150:151], v[48:49]
	v_fma_f64 v[154:155], v[12:13], v[130:131], -v[132:133]
	v_fma_f64 v[158:159], v[16:17], v[126:127], -v[128:129]
	v_fma_f64 v[88:89], v[88:89], -0.5, v[20:21]
	v_add_f64 v[20:21], v[20:21], v[34:35]
	v_fma_f64 v[144:145], v[14:15], -0.5, v[142:143]
	v_add_f64 v[142:143], v[82:83], v[142:143]
	v_add_f64 v[82:83], v[82:83], -v[148:149]
	v_add_f64 v[34:35], v[152:153], v[48:49]
	ds_read2_b64 v[130:133], v100 offset0:5 offset1:10
	v_add_f64 v[126:127], v[20:21], v[156:157]
	v_add_f64 v[20:21], v[154:155], v[158:159]
	;; [unrolled: 1-line block ×3, first 2 shown]
	ds_read2_b64 v[146:149], v100 offset0:100 offset1:105
	v_fma_f64 v[14:15], v[113:114], s[0:1], v[144:145]
	v_fma_f64 v[18:19], v[113:114], s[2:3], v[144:145]
	ds_read2_b64 v[142:145], v100 offset0:50 offset1:55
	v_fma_f64 v[12:13], v[82:83], s[2:3], v[88:89]
	v_fma_f64 v[16:17], v[82:83], s[0:1], v[88:89]
	v_add_f64 v[82:83], v[154:155], -v[158:159]
	s_waitcnt lgkmcnt(2)
	v_fma_f64 v[34:35], v[34:35], -0.5, v[132:133]
	s_waitcnt vmcnt(2)
	v_mul_f64 v[88:89], v[6:7], v[140:141]
	v_mul_f64 v[113:114], v[10:11], v[136:137]
	v_add_f64 v[132:133], v[152:153], v[132:133]
	v_fma_f64 v[20:21], v[20:21], -0.5, v[2:3]
	v_add_f64 v[152:153], v[152:153], -v[48:49]
	s_waitcnt lgkmcnt(1)
	v_mul_f64 v[156:157], v[148:149], v[136:137]
	s_waitcnt lgkmcnt(0)
	v_mul_f64 v[140:141], v[144:145], v[140:141]
	v_fma_f64 v[150:151], v[82:83], s[0:1], v[34:35]
	v_fma_f64 v[88:89], v[138:139], v[144:145], v[88:89]
	;; [unrolled: 1-line block ×4, first 2 shown]
	v_add_f64 v[34:35], v[48:49], v[132:133]
	v_fma_f64 v[148:149], v[152:153], s[2:3], v[20:21]
	v_fma_f64 v[48:49], v[10:11], v[134:135], -v[156:157]
	v_fma_f64 v[134:135], v[152:153], s[0:1], v[20:21]
	s_waitcnt vmcnt(0)
	v_mul_f64 v[20:21], v[4:5], v[32:33]
	v_mul_f64 v[82:83], v[8:9], v[28:29]
	v_fma_f64 v[6:7], v[6:7], v[138:139], -v[140:141]
	v_mul_f64 v[32:33], v[142:143], v[32:33]
	v_mul_f64 v[28:29], v[146:147], v[28:29]
	v_add_f64 v[10:11], v[88:89], v[113:114]
	v_add_f64 v[2:3], v[2:3], v[154:155]
	v_fma_f64 v[20:21], v[30:31], v[142:143], v[20:21]
	v_fma_f64 v[82:83], v[26:27], v[146:147], v[82:83]
	v_add_f64 v[132:133], v[6:7], v[48:49]
	v_fma_f64 v[30:31], v[4:5], v[30:31], -v[32:33]
	v_fma_f64 v[140:141], v[8:9], v[26:27], -v[28:29]
	v_add_f64 v[138:139], v[6:7], -v[48:49]
	v_fma_f64 v[10:11], v[10:11], -0.5, v[130:131]
	v_add_f64 v[130:131], v[88:89], v[130:131]
	v_add_f64 v[8:9], v[88:89], -v[113:114]
	v_add_f64 v[26:27], v[20:21], v[82:83]
	v_fma_f64 v[4:5], v[132:133], -0.5, v[0:1]
	v_add_f64 v[28:29], v[0:1], v[6:7]
	v_add_f64 v[88:89], v[30:31], v[140:141]
	;; [unrolled: 1-line block ×3, first 2 shown]
	v_fma_f64 v[2:3], v[138:139], s[0:1], v[10:11]
	v_fma_f64 v[6:7], v[138:139], s[2:3], v[10:11]
	v_add_f64 v[10:11], v[113:114], v[130:131]
	v_add_f64 v[113:114], v[30:31], -v[140:141]
	v_fma_f64 v[26:27], v[26:27], -0.5, v[122:123]
	v_fma_f64 v[0:1], v[8:9], s[2:3], v[4:5]
	v_fma_f64 v[4:5], v[8:9], s[0:1], v[4:5]
	v_add_f64 v[8:9], v[28:29], v[48:49]
	v_add_f64 v[48:49], v[20:21], v[122:123]
	v_fma_f64 v[122:123], v[88:89], -0.5, v[86:87]
	v_add_f64 v[20:21], v[20:21], -v[82:83]
	v_add_f64 v[30:31], v[86:87], v[30:31]
	v_fma_f64 v[28:29], v[113:114], s[0:1], v[26:27]
	v_fma_f64 v[88:89], v[113:114], s[2:3], v[26:27]
	v_lshrrev_b32_e32 v26, 4, v84
	v_add_f64 v[132:133], v[48:49], v[82:83]
	v_mul_lo_u32 v48, v26, 50
	v_fma_f64 v[26:27], v[20:21], s[2:3], v[122:123]
	v_fma_f64 v[86:87], v[20:21], s[0:1], v[122:123]
	v_lshlrev_b64 v[20:21], 4, v[90:91]
	v_add_u32_e32 v49, 5, v125
	v_add_f64 v[130:131], v[30:31], v[140:141]
	v_sub_u32_e32 v30, v125, v48
	v_mov_b32_e32 v31, s11
	v_add_co_u32_e32 v48, vcc, s10, v20
	v_mul_hi_u32 v82, v49, s4
	v_addc_co_u32_e32 v31, vcc, v31, v21, vcc
	v_lshlrev_b64 v[20:21], 4, v[120:121]
	v_add_co_u32_e32 v48, vcc, v48, v20
	v_addc_co_u32_e32 v83, vcc, v31, v21, vcc
	v_lshrrev_b32_e32 v31, 4, v82
	v_lshlrev_b32_e32 v20, 4, v30
	v_mul_lo_u32 v30, v31, 50
	v_add_co_u32_e32 v20, vcc, v48, v20
	v_addc_co_u32_e32 v21, vcc, 0, v83, vcc
	v_sub_u32_e32 v30, v49, v30
	v_mad_u64_u32 v[30:31], s[0:1], v31, s18, v[30:31]
	v_mov_b32_e32 v31, v85
	global_store_dwordx4 v[20:21], v[130:133], off
	global_store_dwordx4 v[20:21], v[86:89], off offset:800
	global_store_dwordx4 v[20:21], v[26:29], off offset:1600
	v_lshlrev_b64 v[20:21], 4, v[30:31]
	v_add_u32_e32 v84, 50, v30
	v_add_co_u32_e32 v20, vcc, v48, v20
	v_addc_co_u32_e32 v21, vcc, v83, v21, vcc
	global_store_dwordx4 v[20:21], v[8:11], off
	s_nop 0
	v_add_u32_e32 v10, 10, v125
	v_mul_hi_u32 v11, v10, s4
	v_lshlrev_b64 v[8:9], 4, v[84:85]
	v_add_u32_e32 v84, 0x64, v30
	v_add_co_u32_e32 v8, vcc, v48, v8
	v_lshrrev_b32_e32 v11, 4, v11
	v_mul_lo_u32 v20, v11, 50
	v_addc_co_u32_e32 v9, vcc, v83, v9, vcc
	global_store_dwordx4 v[8:9], v[4:7], off
	s_nop 0
	v_lshlrev_b64 v[4:5], 4, v[84:85]
	v_sub_u32_e32 v6, v10, v20
	v_add_co_u32_e32 v4, vcc, v48, v4
	v_mad_u64_u32 v[6:7], s[0:1], v11, s18, v[6:7]
	v_addc_co_u32_e32 v5, vcc, v83, v5, vcc
	global_store_dwordx4 v[4:5], v[0:3], off
	v_mov_b32_e32 v7, v85
	v_add_u32_e32 v2, 15, v125
	v_mul_hi_u32 v3, v2, s4
	v_lshlrev_b64 v[0:1], 4, v[6:7]
	v_add_u32_e32 v84, 50, v6
	v_add_co_u32_e32 v0, vcc, v48, v0
	v_lshrrev_b32_e32 v3, 4, v3
	v_addc_co_u32_e32 v1, vcc, v83, v1, vcc
	v_mul_lo_u32 v4, v3, 50
	global_store_dwordx4 v[0:1], v[32:35], off
	v_lshlrev_b64 v[0:1], 4, v[84:85]
	v_add_u32_e32 v84, 0x64, v6
	v_add_co_u32_e32 v0, vcc, v48, v0
	v_addc_co_u32_e32 v1, vcc, v83, v1, vcc
	v_sub_u32_e32 v2, v2, v4
	global_store_dwordx4 v[0:1], v[134:137], off
	v_lshlrev_b64 v[0:1], 4, v[84:85]
	v_mad_u64_u32 v[2:3], s[0:1], v3, s18, v[2:3]
	v_add_co_u32_e32 v0, vcc, v48, v0
	v_addc_co_u32_e32 v1, vcc, v83, v1, vcc
	v_mov_b32_e32 v3, v85
	global_store_dwordx4 v[0:1], v[148:151], off
	v_lshlrev_b64 v[0:1], 4, v[2:3]
	v_add_u32_e32 v3, 20, v125
	v_mul_hi_u32 v4, v3, s4
	v_add_co_u32_e32 v0, vcc, v48, v0
	v_addc_co_u32_e32 v1, vcc, v83, v1, vcc
	v_lshrrev_b32_e32 v4, 4, v4
	v_add_u32_e32 v84, 50, v2
	v_mul_lo_u32 v5, v4, 50
	global_store_dwordx4 v[0:1], v[126:129], off
	v_lshlrev_b64 v[0:1], 4, v[84:85]
	v_add_u32_e32 v84, 0x64, v2
	v_add_co_u32_e32 v0, vcc, v48, v0
	v_addc_co_u32_e32 v1, vcc, v83, v1, vcc
	v_sub_u32_e32 v2, v3, v5
	global_store_dwordx4 v[0:1], v[16:19], off
	v_lshlrev_b64 v[0:1], 4, v[84:85]
	v_mad_u64_u32 v[2:3], s[0:1], v4, s18, v[2:3]
	v_add_co_u32_e32 v0, vcc, v48, v0
	v_addc_co_u32_e32 v1, vcc, v83, v1, vcc
	v_mov_b32_e32 v3, v85
	global_store_dwordx4 v[0:1], v[12:15], off
	v_lshlrev_b64 v[0:1], 4, v[2:3]
	v_add_u32_e32 v3, 25, v125
	v_mul_hi_u32 v4, v3, s4
	v_add_co_u32_e32 v0, vcc, v48, v0
	v_addc_co_u32_e32 v1, vcc, v83, v1, vcc
	v_lshrrev_b32_e32 v4, 4, v4
	v_add_u32_e32 v84, 50, v2
	;; [unrolled: 21-line block ×6, first 2 shown]
	v_mul_lo_u32 v5, v4, 50
	global_store_dwordx4 v[0:1], v[66:69], off
	v_lshlrev_b64 v[0:1], 4, v[84:85]
	v_add_u32_e32 v84, 0x64, v2
	v_add_co_u32_e32 v0, vcc, v48, v0
	v_addc_co_u32_e32 v1, vcc, v83, v1, vcc
	v_sub_u32_e32 v2, v3, v5
	global_store_dwordx4 v[0:1], v[62:65], off
	v_lshlrev_b64 v[0:1], 4, v[84:85]
	v_mad_u64_u32 v[2:3], s[0:1], v4, s18, v[2:3]
	v_add_co_u32_e32 v0, vcc, v48, v0
	v_addc_co_u32_e32 v1, vcc, v83, v1, vcc
	v_mov_b32_e32 v3, v85
	global_store_dwordx4 v[0:1], v[58:61], off
	v_lshlrev_b64 v[0:1], 4, v[2:3]
	v_add_u32_e32 v84, 50, v2
	v_add_co_u32_e32 v0, vcc, v48, v0
	v_addc_co_u32_e32 v1, vcc, v83, v1, vcc
	global_store_dwordx4 v[0:1], v[54:57], off
	v_lshlrev_b64 v[0:1], 4, v[84:85]
	v_add_u32_e32 v84, 0x64, v2
	v_add_co_u32_e32 v0, vcc, v48, v0
	v_addc_co_u32_e32 v1, vcc, v83, v1, vcc
	global_store_dwordx4 v[0:1], v[50:53], off
	v_lshlrev_b64 v[0:1], 4, v[84:85]
	v_add_co_u32_e32 v0, vcc, v48, v0
	v_addc_co_u32_e32 v1, vcc, v83, v1, vcc
	global_store_dwordx4 v[0:1], v[36:39], off
.LBB0_14:
	s_endpgm
	.section	.rodata,"a",@progbits
	.p2align	6, 0x0
	.amdhsa_kernel fft_rtc_fwd_len150_factors_10_5_3_wgs_60_tpt_5_halfLds_dp_op_CI_CI_unitstride_sbrr_dirReg
		.amdhsa_group_segment_fixed_size 0
		.amdhsa_private_segment_fixed_size 0
		.amdhsa_kernarg_size 104
		.amdhsa_user_sgpr_count 6
		.amdhsa_user_sgpr_private_segment_buffer 1
		.amdhsa_user_sgpr_dispatch_ptr 0
		.amdhsa_user_sgpr_queue_ptr 0
		.amdhsa_user_sgpr_kernarg_segment_ptr 1
		.amdhsa_user_sgpr_dispatch_id 0
		.amdhsa_user_sgpr_flat_scratch_init 0
		.amdhsa_user_sgpr_private_segment_size 0
		.amdhsa_uses_dynamic_stack 0
		.amdhsa_system_sgpr_private_segment_wavefront_offset 0
		.amdhsa_system_sgpr_workgroup_id_x 1
		.amdhsa_system_sgpr_workgroup_id_y 0
		.amdhsa_system_sgpr_workgroup_id_z 0
		.amdhsa_system_sgpr_workgroup_info 0
		.amdhsa_system_vgpr_workitem_id 0
		.amdhsa_next_free_vgpr 220
		.amdhsa_next_free_sgpr 28
		.amdhsa_reserve_vcc 1
		.amdhsa_reserve_flat_scratch 0
		.amdhsa_float_round_mode_32 0
		.amdhsa_float_round_mode_16_64 0
		.amdhsa_float_denorm_mode_32 3
		.amdhsa_float_denorm_mode_16_64 3
		.amdhsa_dx10_clamp 1
		.amdhsa_ieee_mode 1
		.amdhsa_fp16_overflow 0
		.amdhsa_exception_fp_ieee_invalid_op 0
		.amdhsa_exception_fp_denorm_src 0
		.amdhsa_exception_fp_ieee_div_zero 0
		.amdhsa_exception_fp_ieee_overflow 0
		.amdhsa_exception_fp_ieee_underflow 0
		.amdhsa_exception_fp_ieee_inexact 0
		.amdhsa_exception_int_div_zero 0
	.end_amdhsa_kernel
	.text
.Lfunc_end0:
	.size	fft_rtc_fwd_len150_factors_10_5_3_wgs_60_tpt_5_halfLds_dp_op_CI_CI_unitstride_sbrr_dirReg, .Lfunc_end0-fft_rtc_fwd_len150_factors_10_5_3_wgs_60_tpt_5_halfLds_dp_op_CI_CI_unitstride_sbrr_dirReg
                                        ; -- End function
	.section	.AMDGPU.csdata,"",@progbits
; Kernel info:
; codeLenInByte = 13812
; NumSgprs: 32
; NumVgprs: 220
; ScratchSize: 0
; MemoryBound: 1
; FloatMode: 240
; IeeeMode: 1
; LDSByteSize: 0 bytes/workgroup (compile time only)
; SGPRBlocks: 3
; VGPRBlocks: 54
; NumSGPRsForWavesPerEU: 32
; NumVGPRsForWavesPerEU: 220
; Occupancy: 1
; WaveLimiterHint : 1
; COMPUTE_PGM_RSRC2:SCRATCH_EN: 0
; COMPUTE_PGM_RSRC2:USER_SGPR: 6
; COMPUTE_PGM_RSRC2:TRAP_HANDLER: 0
; COMPUTE_PGM_RSRC2:TGID_X_EN: 1
; COMPUTE_PGM_RSRC2:TGID_Y_EN: 0
; COMPUTE_PGM_RSRC2:TGID_Z_EN: 0
; COMPUTE_PGM_RSRC2:TIDIG_COMP_CNT: 0
	.type	__hip_cuid_2f95df40d69d7864,@object ; @__hip_cuid_2f95df40d69d7864
	.section	.bss,"aw",@nobits
	.globl	__hip_cuid_2f95df40d69d7864
__hip_cuid_2f95df40d69d7864:
	.byte	0                               ; 0x0
	.size	__hip_cuid_2f95df40d69d7864, 1

	.ident	"AMD clang version 19.0.0git (https://github.com/RadeonOpenCompute/llvm-project roc-6.4.0 25133 c7fe45cf4b819c5991fe208aaa96edf142730f1d)"
	.section	".note.GNU-stack","",@progbits
	.addrsig
	.addrsig_sym __hip_cuid_2f95df40d69d7864
	.amdgpu_metadata
---
amdhsa.kernels:
  - .args:
      - .actual_access:  read_only
        .address_space:  global
        .offset:         0
        .size:           8
        .value_kind:     global_buffer
      - .offset:         8
        .size:           8
        .value_kind:     by_value
      - .actual_access:  read_only
        .address_space:  global
        .offset:         16
        .size:           8
        .value_kind:     global_buffer
      - .actual_access:  read_only
        .address_space:  global
        .offset:         24
        .size:           8
        .value_kind:     global_buffer
      - .actual_access:  read_only
        .address_space:  global
        .offset:         32
        .size:           8
        .value_kind:     global_buffer
      - .offset:         40
        .size:           8
        .value_kind:     by_value
      - .actual_access:  read_only
        .address_space:  global
        .offset:         48
        .size:           8
        .value_kind:     global_buffer
      - .actual_access:  read_only
        .address_space:  global
        .offset:         56
        .size:           8
        .value_kind:     global_buffer
      - .offset:         64
        .size:           4
        .value_kind:     by_value
      - .actual_access:  read_only
        .address_space:  global
        .offset:         72
        .size:           8
        .value_kind:     global_buffer
      - .actual_access:  read_only
        .address_space:  global
        .offset:         80
        .size:           8
        .value_kind:     global_buffer
      - .actual_access:  read_only
        .address_space:  global
        .offset:         88
        .size:           8
        .value_kind:     global_buffer
      - .actual_access:  write_only
        .address_space:  global
        .offset:         96
        .size:           8
        .value_kind:     global_buffer
    .group_segment_fixed_size: 0
    .kernarg_segment_align: 8
    .kernarg_segment_size: 104
    .language:       OpenCL C
    .language_version:
      - 2
      - 0
    .max_flat_workgroup_size: 60
    .name:           fft_rtc_fwd_len150_factors_10_5_3_wgs_60_tpt_5_halfLds_dp_op_CI_CI_unitstride_sbrr_dirReg
    .private_segment_fixed_size: 0
    .sgpr_count:     32
    .sgpr_spill_count: 0
    .symbol:         fft_rtc_fwd_len150_factors_10_5_3_wgs_60_tpt_5_halfLds_dp_op_CI_CI_unitstride_sbrr_dirReg.kd
    .uniform_work_group_size: 1
    .uses_dynamic_stack: false
    .vgpr_count:     220
    .vgpr_spill_count: 0
    .wavefront_size: 64
amdhsa.target:   amdgcn-amd-amdhsa--gfx906
amdhsa.version:
  - 1
  - 2
...

	.end_amdgpu_metadata
